;; amdgpu-corpus repo=ROCm/rocFFT kind=compiled arch=gfx906 opt=O3
	.text
	.amdgcn_target "amdgcn-amd-amdhsa--gfx906"
	.amdhsa_code_object_version 6
	.protected	fft_rtc_fwd_len1666_factors_17_2_7_7_wgs_119_tpt_119_halfLds_half_op_CI_CI_unitstride_sbrr_R2C_dirReg ; -- Begin function fft_rtc_fwd_len1666_factors_17_2_7_7_wgs_119_tpt_119_halfLds_half_op_CI_CI_unitstride_sbrr_R2C_dirReg
	.globl	fft_rtc_fwd_len1666_factors_17_2_7_7_wgs_119_tpt_119_halfLds_half_op_CI_CI_unitstride_sbrr_R2C_dirReg
	.p2align	8
	.type	fft_rtc_fwd_len1666_factors_17_2_7_7_wgs_119_tpt_119_halfLds_half_op_CI_CI_unitstride_sbrr_R2C_dirReg,@function
fft_rtc_fwd_len1666_factors_17_2_7_7_wgs_119_tpt_119_halfLds_half_op_CI_CI_unitstride_sbrr_R2C_dirReg: ; @fft_rtc_fwd_len1666_factors_17_2_7_7_wgs_119_tpt_119_halfLds_half_op_CI_CI_unitstride_sbrr_R2C_dirReg
; %bb.0:
	s_load_dwordx4 s[8:11], s[4:5], 0x58
	s_load_dwordx4 s[12:15], s[4:5], 0x0
	;; [unrolled: 1-line block ×3, first 2 shown]
	v_mul_u32_u24_e32 v1, 0x227, v0
	v_mov_b32_e32 v3, 0
	v_mov_b32_e32 v7, 0
	s_waitcnt lgkmcnt(0)
	v_cmp_lt_u64_e64 s[0:1], s[14:15], 2
	v_add_u32_sdwa v9, s6, v1 dst_sel:DWORD dst_unused:UNUSED_PAD src0_sel:DWORD src1_sel:WORD_1
	v_mov_b32_e32 v10, v3
	s_and_b64 vcc, exec, s[0:1]
	v_mov_b32_e32 v8, 0
	s_cbranch_vccnz .LBB0_8
; %bb.1:
	s_load_dwordx2 s[0:1], s[4:5], 0x10
	s_add_u32 s2, s18, 8
	s_addc_u32 s3, s19, 0
	s_add_u32 s6, s16, 8
	s_addc_u32 s7, s17, 0
	v_mov_b32_e32 v7, 0
	s_waitcnt lgkmcnt(0)
	s_add_u32 s20, s0, 8
	v_mov_b32_e32 v8, 0
	v_mov_b32_e32 v1, v7
	s_addc_u32 s21, s1, 0
	s_mov_b64 s[22:23], 1
	v_mov_b32_e32 v2, v8
.LBB0_2:                                ; =>This Inner Loop Header: Depth=1
	s_load_dwordx2 s[24:25], s[20:21], 0x0
                                        ; implicit-def: $vgpr5_vgpr6
	s_waitcnt lgkmcnt(0)
	v_or_b32_e32 v4, s25, v10
	v_cmp_ne_u64_e32 vcc, 0, v[3:4]
	s_and_saveexec_b64 s[0:1], vcc
	s_xor_b64 s[26:27], exec, s[0:1]
	s_cbranch_execz .LBB0_4
; %bb.3:                                ;   in Loop: Header=BB0_2 Depth=1
	v_cvt_f32_u32_e32 v4, s24
	v_cvt_f32_u32_e32 v5, s25
	s_sub_u32 s0, 0, s24
	s_subb_u32 s1, 0, s25
	v_mac_f32_e32 v4, 0x4f800000, v5
	v_rcp_f32_e32 v4, v4
	v_mul_f32_e32 v4, 0x5f7ffffc, v4
	v_mul_f32_e32 v5, 0x2f800000, v4
	v_trunc_f32_e32 v5, v5
	v_mac_f32_e32 v4, 0xcf800000, v5
	v_cvt_u32_f32_e32 v5, v5
	v_cvt_u32_f32_e32 v4, v4
	v_mul_lo_u32 v6, s0, v5
	v_mul_hi_u32 v11, s0, v4
	v_mul_lo_u32 v13, s1, v4
	v_mul_lo_u32 v12, s0, v4
	v_add_u32_e32 v6, v11, v6
	v_add_u32_e32 v6, v6, v13
	v_mul_hi_u32 v11, v4, v12
	v_mul_lo_u32 v13, v4, v6
	v_mul_hi_u32 v15, v4, v6
	v_mul_hi_u32 v14, v5, v12
	v_mul_lo_u32 v12, v5, v12
	v_mul_hi_u32 v16, v5, v6
	v_add_co_u32_e32 v11, vcc, v11, v13
	v_addc_co_u32_e32 v13, vcc, 0, v15, vcc
	v_mul_lo_u32 v6, v5, v6
	v_add_co_u32_e32 v11, vcc, v11, v12
	v_addc_co_u32_e32 v11, vcc, v13, v14, vcc
	v_addc_co_u32_e32 v12, vcc, 0, v16, vcc
	v_add_co_u32_e32 v6, vcc, v11, v6
	v_addc_co_u32_e32 v11, vcc, 0, v12, vcc
	v_add_co_u32_e32 v4, vcc, v4, v6
	v_addc_co_u32_e32 v5, vcc, v5, v11, vcc
	v_mul_lo_u32 v6, s0, v5
	v_mul_hi_u32 v11, s0, v4
	v_mul_lo_u32 v12, s1, v4
	v_mul_lo_u32 v13, s0, v4
	v_add_u32_e32 v6, v11, v6
	v_add_u32_e32 v6, v6, v12
	v_mul_lo_u32 v14, v4, v6
	v_mul_hi_u32 v15, v4, v13
	v_mul_hi_u32 v16, v4, v6
	v_mul_hi_u32 v12, v5, v13
	v_mul_lo_u32 v13, v5, v13
	v_mul_hi_u32 v11, v5, v6
	v_add_co_u32_e32 v14, vcc, v15, v14
	v_addc_co_u32_e32 v15, vcc, 0, v16, vcc
	v_mul_lo_u32 v6, v5, v6
	v_add_co_u32_e32 v13, vcc, v14, v13
	v_addc_co_u32_e32 v12, vcc, v15, v12, vcc
	v_addc_co_u32_e32 v11, vcc, 0, v11, vcc
	v_add_co_u32_e32 v6, vcc, v12, v6
	v_addc_co_u32_e32 v11, vcc, 0, v11, vcc
	v_add_co_u32_e32 v6, vcc, v4, v6
	v_addc_co_u32_e32 v11, vcc, v5, v11, vcc
	v_mad_u64_u32 v[4:5], s[0:1], v9, v11, 0
	v_mul_hi_u32 v12, v9, v6
	v_add_co_u32_e32 v13, vcc, v12, v4
	v_addc_co_u32_e32 v14, vcc, 0, v5, vcc
	v_mad_u64_u32 v[4:5], s[0:1], v10, v6, 0
	v_mad_u64_u32 v[11:12], s[0:1], v10, v11, 0
	v_add_co_u32_e32 v4, vcc, v13, v4
	v_addc_co_u32_e32 v4, vcc, v14, v5, vcc
	v_addc_co_u32_e32 v5, vcc, 0, v12, vcc
	v_add_co_u32_e32 v11, vcc, v4, v11
	v_addc_co_u32_e32 v6, vcc, 0, v5, vcc
	v_mul_lo_u32 v12, s25, v11
	v_mul_lo_u32 v13, s24, v6
	v_mad_u64_u32 v[4:5], s[0:1], s24, v11, 0
	v_add3_u32 v5, v5, v13, v12
	v_sub_u32_e32 v12, v10, v5
	v_mov_b32_e32 v13, s25
	v_sub_co_u32_e32 v4, vcc, v9, v4
	v_subb_co_u32_e64 v12, s[0:1], v12, v13, vcc
	v_subrev_co_u32_e64 v13, s[0:1], s24, v4
	v_subbrev_co_u32_e64 v12, s[0:1], 0, v12, s[0:1]
	v_cmp_le_u32_e64 s[0:1], s25, v12
	v_cndmask_b32_e64 v14, 0, -1, s[0:1]
	v_cmp_le_u32_e64 s[0:1], s24, v13
	v_cndmask_b32_e64 v13, 0, -1, s[0:1]
	v_cmp_eq_u32_e64 s[0:1], s25, v12
	v_cndmask_b32_e64 v12, v14, v13, s[0:1]
	v_add_co_u32_e64 v13, s[0:1], 2, v11
	v_addc_co_u32_e64 v14, s[0:1], 0, v6, s[0:1]
	v_add_co_u32_e64 v15, s[0:1], 1, v11
	v_addc_co_u32_e64 v16, s[0:1], 0, v6, s[0:1]
	v_subb_co_u32_e32 v5, vcc, v10, v5, vcc
	v_cmp_ne_u32_e64 s[0:1], 0, v12
	v_cmp_le_u32_e32 vcc, s25, v5
	v_cndmask_b32_e64 v12, v16, v14, s[0:1]
	v_cndmask_b32_e64 v14, 0, -1, vcc
	v_cmp_le_u32_e32 vcc, s24, v4
	v_cndmask_b32_e64 v4, 0, -1, vcc
	v_cmp_eq_u32_e32 vcc, s25, v5
	v_cndmask_b32_e32 v4, v14, v4, vcc
	v_cmp_ne_u32_e32 vcc, 0, v4
	v_cndmask_b32_e64 v4, v15, v13, s[0:1]
	v_cndmask_b32_e32 v6, v6, v12, vcc
	v_cndmask_b32_e32 v5, v11, v4, vcc
.LBB0_4:                                ;   in Loop: Header=BB0_2 Depth=1
	s_andn2_saveexec_b64 s[0:1], s[26:27]
	s_cbranch_execz .LBB0_6
; %bb.5:                                ;   in Loop: Header=BB0_2 Depth=1
	v_cvt_f32_u32_e32 v4, s24
	s_sub_i32 s26, 0, s24
	v_rcp_iflag_f32_e32 v4, v4
	v_mul_f32_e32 v4, 0x4f7ffffe, v4
	v_cvt_u32_f32_e32 v4, v4
	v_mul_lo_u32 v5, s26, v4
	v_mul_hi_u32 v5, v4, v5
	v_add_u32_e32 v4, v4, v5
	v_mul_hi_u32 v4, v9, v4
	v_mul_lo_u32 v5, v4, s24
	v_add_u32_e32 v6, 1, v4
	v_sub_u32_e32 v5, v9, v5
	v_subrev_u32_e32 v11, s24, v5
	v_cmp_le_u32_e32 vcc, s24, v5
	v_cndmask_b32_e32 v5, v5, v11, vcc
	v_cndmask_b32_e32 v4, v4, v6, vcc
	v_add_u32_e32 v6, 1, v4
	v_cmp_le_u32_e32 vcc, s24, v5
	v_cndmask_b32_e32 v5, v4, v6, vcc
	v_mov_b32_e32 v6, v3
.LBB0_6:                                ;   in Loop: Header=BB0_2 Depth=1
	s_or_b64 exec, exec, s[0:1]
	v_mul_lo_u32 v4, v6, s24
	v_mul_lo_u32 v13, v5, s25
	v_mad_u64_u32 v[11:12], s[0:1], v5, s24, 0
	s_load_dwordx2 s[0:1], s[6:7], 0x0
	s_load_dwordx2 s[24:25], s[2:3], 0x0
	v_add3_u32 v4, v12, v13, v4
	v_sub_co_u32_e32 v9, vcc, v9, v11
	v_subb_co_u32_e32 v4, vcc, v10, v4, vcc
	s_waitcnt lgkmcnt(0)
	v_mul_lo_u32 v10, s0, v4
	v_mul_lo_u32 v11, s1, v9
	v_mad_u64_u32 v[7:8], s[0:1], s0, v9, v[7:8]
	s_add_u32 s22, s22, 1
	s_addc_u32 s23, s23, 0
	s_add_u32 s2, s2, 8
	v_mul_lo_u32 v4, s24, v4
	v_mul_lo_u32 v12, s25, v9
	v_mad_u64_u32 v[1:2], s[0:1], s24, v9, v[1:2]
	v_add3_u32 v8, v11, v8, v10
	s_addc_u32 s3, s3, 0
	v_mov_b32_e32 v9, s14
	s_add_u32 s6, s6, 8
	v_mov_b32_e32 v10, s15
	s_addc_u32 s7, s7, 0
	v_cmp_ge_u64_e32 vcc, s[22:23], v[9:10]
	s_add_u32 s20, s20, 8
	v_add3_u32 v2, v12, v2, v4
	s_addc_u32 s21, s21, 0
	s_cbranch_vccnz .LBB0_9
; %bb.7:                                ;   in Loop: Header=BB0_2 Depth=1
	v_mov_b32_e32 v10, v6
	v_mov_b32_e32 v9, v5
	s_branch .LBB0_2
.LBB0_8:
	v_mov_b32_e32 v1, v7
	v_mov_b32_e32 v5, v9
	;; [unrolled: 1-line block ×4, first 2 shown]
.LBB0_9:
	s_load_dwordx2 s[4:5], s[4:5], 0x28
	s_lshl_b64 s[6:7], s[14:15], 3
	s_add_u32 s2, s18, s6
	s_addc_u32 s3, s19, s7
                                        ; implicit-def: $vgpr3
	s_waitcnt lgkmcnt(0)
	v_cmp_gt_u64_e64 s[0:1], s[4:5], v[5:6]
	v_cmp_le_u64_e32 vcc, s[4:5], v[5:6]
	s_and_saveexec_b64 s[4:5], vcc
	s_xor_b64 s[4:5], exec, s[4:5]
; %bb.10:
	s_mov_b32 s14, 0x226b903
	v_mul_hi_u32 v3, v0, s14
                                        ; implicit-def: $vgpr7_vgpr8
	v_mul_u32_u24_e32 v3, 0x77, v3
	v_sub_u32_e32 v3, v0, v3
                                        ; implicit-def: $vgpr0
; %bb.11:
	s_andn2_saveexec_b64 s[4:5], s[4:5]
	s_cbranch_execz .LBB0_13
; %bb.12:
	s_add_u32 s6, s16, s6
	s_addc_u32 s7, s17, s7
	s_load_dwordx2 s[6:7], s[6:7], 0x0
	s_mov_b32 s14, 0x226b903
	v_mul_hi_u32 v3, v0, s14
	v_lshlrev_b64 v[7:8], 2, v[7:8]
	s_waitcnt lgkmcnt(0)
	v_mul_lo_u32 v4, s7, v5
	v_mul_lo_u32 v11, s6, v6
	v_mad_u64_u32 v[9:10], s[6:7], s6, v5, 0
	v_mul_u32_u24_e32 v3, 0x77, v3
	v_sub_u32_e32 v3, v0, v3
	v_add3_u32 v10, v10, v11, v4
	v_lshlrev_b64 v[9:10], 2, v[9:10]
	v_mov_b32_e32 v0, s9
	v_add_co_u32_e32 v4, vcc, s8, v9
	v_addc_co_u32_e32 v0, vcc, v0, v10, vcc
	v_add_co_u32_e32 v4, vcc, v4, v7
	v_addc_co_u32_e32 v0, vcc, v0, v8, vcc
	v_lshlrev_b32_e32 v11, 2, v3
	v_add_co_u32_e32 v7, vcc, v4, v11
	v_addc_co_u32_e32 v8, vcc, 0, v0, vcc
	v_add_co_u32_e32 v9, vcc, 0x1000, v7
	global_load_dword v0, v[7:8], off
	global_load_dword v4, v[7:8], off offset:476
	global_load_dword v12, v[7:8], off offset:952
	global_load_dword v13, v[7:8], off offset:1428
	global_load_dword v14, v[7:8], off offset:1904
	global_load_dword v15, v[7:8], off offset:2380
	global_load_dword v16, v[7:8], off offset:2856
	global_load_dword v17, v[7:8], off offset:3332
	v_addc_co_u32_e32 v10, vcc, 0, v8, vcc
	global_load_dword v18, v[7:8], off offset:3808
	global_load_dword v19, v[9:10], off offset:188
	global_load_dword v20, v[9:10], off offset:664
	global_load_dword v21, v[9:10], off offset:1140
	global_load_dword v22, v[9:10], off offset:1616
	global_load_dword v23, v[9:10], off offset:2092
	v_add_u32_e32 v7, 0, v11
	v_add_u32_e32 v8, 0x200, v7
	;; [unrolled: 1-line block ×7, first 2 shown]
	s_waitcnt vmcnt(12)
	ds_write2_b32 v7, v0, v4 offset1:119
	s_waitcnt vmcnt(10)
	ds_write2_b32 v8, v12, v13 offset0:110 offset1:229
	s_waitcnt vmcnt(8)
	ds_write2_b32 v9, v14, v15 offset0:92 offset1:211
	;; [unrolled: 2-line block ×6, first 2 shown]
.LBB0_13:
	s_or_b64 exec, exec, s[4:5]
	v_lshl_add_u32 v0, v3, 2, 0
	v_add_u32_e32 v9, 0x400, v0
	s_waitcnt lgkmcnt(0)
	s_barrier
	ds_read2_b32 v[15:16], v9 offset0:136 offset1:234
	v_add_u32_e32 v9, 0x800, v0
	v_add_u32_e32 v4, 0x200, v0
	ds_read2_b32 v[11:12], v9 offset0:76 offset1:174
	v_add_u32_e32 v9, 0xc00, v0
	v_add_u32_e32 v23, 0xe00, v0
	;; [unrolled: 1-line block ×4, first 2 shown]
	ds_read2_b32 v[7:8], v0 offset1:98
	ds_read2_b32 v[19:20], v4 offset0:68 offset1:166
	ds_read2_b32 v[9:10], v9 offset0:16 offset1:114
	;; [unrolled: 1-line block ×5, first 2 shown]
	ds_read_b32 v24, v0 offset:6272
	s_movk_i32 s4, 0x62
	v_cmp_gt_u32_e32 vcc, s4, v3
	s_waitcnt lgkmcnt(0)
	s_barrier
	s_and_saveexec_b64 s[4:5], vcc
	s_cbranch_execz .LBB0_15
; %bb.14:
	v_pk_add_f16 v25, v7, v8
	v_pk_add_f16 v25, v25, v19
	;; [unrolled: 1-line block ×17, first 2 shown]
	v_lshrrev_b32_e32 v38, 16, v25
	v_mul_f16_e32 v34, 0x2de8, v38
	v_pk_add_f16 v24, v8, v24 neg_lo:[0,1] neg_hi:[0,1]
	s_movk_i32 s6, 0x3bf7
	v_pk_add_f16 v26, v22, v19
	v_fma_f16 v8, v24, s6, v34
	v_lshrrev_b32_e32 v39, 16, v26
	v_add_f16_sdwa v28, v7, v8 dst_sel:DWORD dst_unused:UNUSED_PAD src0_sel:WORD_1 src1_sel:DWORD
	v_mul_f16_e32 v49, 0xbbdd, v39
	v_pk_add_f16 v8, v19, v22 neg_lo:[0,1] neg_hi:[0,1]
	s_movk_i32 s29, 0x31e1
	v_fma_f16 v19, v8, s29, v49
	v_add_f16_e32 v22, v19, v28
	v_pk_add_f16 v28, v21, v20
	v_lshrrev_b32_e32 v41, 16, v28
	v_pk_add_f16 v29, v18, v15
	v_mul_f16_e32 v50, 0xb461, v41
	v_pk_add_f16 v19, v20, v21 neg_lo:[0,1] neg_hi:[0,1]
	s_mov_b32 s7, 0xbbb2
	v_lshrrev_b32_e32 v43, 16, v29
	v_pk_add_f16 v30, v17, v16
	v_fma_f16 v20, v19, s7, v50
	v_mul_f16_e32 v51, 0x3b76, v43
	v_pk_add_f16 v15, v15, v18 neg_lo:[0,1] neg_hi:[0,1]
	s_mov_b32 s26, 0xb5c8
	v_lshrrev_b32_e32 v45, 16, v30
	v_pk_add_f16 v31, v14, v11
	v_add_f16_e32 v20, v20, v22
	v_fma_f16 v18, v15, s26, v51
	v_mul_f16_e32 v52, 0x3722, v45
	v_pk_add_f16 v16, v16, v17 neg_lo:[0,1] neg_hi:[0,1]
	s_movk_i32 s8, 0x3b29
	v_lshrrev_b32_e32 v46, 16, v31
	v_pk_add_f16 v32, v13, v12
	v_add_f16_e32 v18, v18, v20
	v_fma_f16 v17, v16, s8, v52
	v_mul_f16_e32 v53, 0xbacd, v46
	v_pk_add_f16 v11, v11, v14 neg_lo:[0,1] neg_hi:[0,1]
	s_movk_i32 s33, 0x3836
	v_lshrrev_b32_e32 v47, 16, v32
	v_pk_add_f16 v33, v10, v9
	v_add_f16_e32 v17, v17, v18
	v_fma_f16 v14, v11, s33, v53
	v_mul_f16_e32 v54, 0xb8d2, v47
	v_pk_add_f16 v12, v12, v13 neg_lo:[0,1] neg_hi:[0,1]
	s_mov_b32 s9, 0xba62
	v_lshrrev_b32_e32 v48, 16, v33
	v_add_f16_e32 v14, v14, v17
	v_fma_f16 v13, v12, s9, v54
	v_mul_f16_e32 v55, 0x39e9, v48
	v_pk_add_f16 v10, v9, v10 neg_lo:[0,1] neg_hi:[0,1]
	s_mov_b32 s28, 0xb964
	s_mov_b32 s27, 0xbbf7
	s_movk_i32 s17, 0x2de8
	v_add_f16_e32 v13, v13, v14
	v_fma_f16 v9, v10, s28, v55
	v_mul_f16_sdwa v56, v24, s27 dst_sel:DWORD dst_unused:UNUSED_PAD src0_sel:WORD_1 src1_sel:DWORD
	s_mov_b32 s23, 0xb1e1
	s_mov_b32 s19, 0xbbdd
	v_add_f16_e32 v9, v9, v13
	v_fma_f16 v13, v25, s17, v56
	v_mul_f16_sdwa v57, v8, s23 dst_sel:DWORD dst_unused:UNUSED_PAD src0_sel:WORD_1 src1_sel:DWORD
	s_movk_i32 s31, 0x3bb2
	s_mov_b32 s18, 0xb461
	v_add_f16_e32 v13, v7, v13
	v_fma_f16 v14, v26, s19, v57
	v_mul_f16_sdwa v58, v19, s31 dst_sel:DWORD dst_unused:UNUSED_PAD src0_sel:WORD_1 src1_sel:DWORD
	s_movk_i32 s14, 0x35c8
	s_movk_i32 s20, 0x3b76
	v_add_f16_e32 v13, v14, v13
	v_fma_f16 v14, v28, s18, v58
	v_mul_f16_sdwa v59, v15, s14 dst_sel:DWORD dst_unused:UNUSED_PAD src0_sel:WORD_1 src1_sel:DWORD
	s_mov_b32 s30, 0xbb29
	s_movk_i32 s21, 0x3722
	v_add_f16_e32 v13, v14, v13
	v_fma_f16 v14, v29, s20, v59
	v_mul_f16_sdwa v60, v16, s30 dst_sel:DWORD dst_unused:UNUSED_PAD src0_sel:WORD_1 src1_sel:DWORD
	s_mov_b32 s15, 0xb836
	s_mov_b32 s22, 0xbacd
	v_add_f16_e32 v13, v14, v13
	v_fma_f16 v14, v30, s21, v60
	v_mul_f16_sdwa v61, v11, s15 dst_sel:DWORD dst_unused:UNUSED_PAD src0_sel:WORD_1 src1_sel:DWORD
	s_movk_i32 s34, 0x3a62
	s_mov_b32 s24, 0xb8d2
	v_add_f16_e32 v13, v14, v13
	v_fma_f16 v14, v31, s22, v61
	v_mul_f16_sdwa v62, v12, s34 dst_sel:DWORD dst_unused:UNUSED_PAD src0_sel:WORD_1 src1_sel:DWORD
	s_movk_i32 s16, 0x3964
	s_movk_i32 s25, 0x39e9
	v_add_f16_e32 v13, v14, v13
	v_fma_f16 v14, v32, s24, v62
	v_mul_f16_sdwa v63, v10, s16 dst_sel:DWORD dst_unused:UNUSED_PAD src0_sel:WORD_1 src1_sel:DWORD
	v_add_f16_e32 v13, v14, v13
	v_fma_f16 v14, v33, s25, v63
	v_mul_f16_e32 v42, 0xb461, v38
	v_fma_f16 v34, v24, s27, v34
	v_add_f16_e32 v13, v14, v13
	v_fma_f16 v14, v24, s31, v42
	v_mul_f16_e32 v44, 0xbacd, v39
	v_add_f16_sdwa v34, v7, v34 dst_sel:DWORD dst_unused:UNUSED_PAD src0_sel:WORD_1 src1_sel:DWORD
	v_fma_f16 v49, v8, s23, v49
	v_add_f16_sdwa v14, v7, v14 dst_sel:DWORD dst_unused:UNUSED_PAD src0_sel:WORD_1 src1_sel:DWORD
	v_fma_f16 v17, v8, s15, v44
	v_mul_f16_e32 v64, 0x39e9, v41
	v_add_f16_e32 v34, v49, v34
	v_fma_f16 v49, v19, s31, v50
	v_add_f16_e32 v14, v17, v14
	v_fma_f16 v17, v19, s28, v64
	v_mul_f16_e32 v65, 0x3722, v43
	v_add_f16_e32 v34, v49, v34
	v_fma_f16 v49, v15, s14, v51
	v_add_f16_e32 v14, v17, v14
	;; [unrolled: 5-line block ×6, first 2 shown]
	v_fma_f16 v17, v10, s34, v69
	v_mul_f16_sdwa v70, v24, s7 dst_sel:DWORD dst_unused:UNUSED_PAD src0_sel:WORD_1 src1_sel:DWORD
	v_add_f16_e32 v49, v49, v34
	v_fma_f16 v34, v25, s17, -v56
	v_add_f16_e32 v14, v17, v14
	v_fma_f16 v17, v25, s18, v70
	v_mul_f16_sdwa v71, v8, s33 dst_sel:DWORD dst_unused:UNUSED_PAD src0_sel:WORD_1 src1_sel:DWORD
	v_add_f16_e32 v34, v7, v34
	v_fma_f16 v50, v26, s19, -v57
	v_add_f16_e32 v17, v7, v17
	v_fma_f16 v18, v26, s22, v71
	v_mul_f16_sdwa v72, v19, s16 dst_sel:DWORD dst_unused:UNUSED_PAD src0_sel:WORD_1 src1_sel:DWORD
	v_fma_f16 v42, v24, s7, v42
	v_add_f16_e32 v34, v50, v34
	v_fma_f16 v50, v28, s18, -v58
	v_add_f16_e32 v17, v18, v17
	v_fma_f16 v18, v28, s25, v72
	v_mul_f16_sdwa v73, v15, s30 dst_sel:DWORD dst_unused:UNUSED_PAD src0_sel:WORD_1 src1_sel:DWORD
	v_add_f16_sdwa v42, v7, v42 dst_sel:DWORD dst_unused:UNUSED_PAD src0_sel:WORD_1 src1_sel:DWORD
	v_fma_f16 v44, v8, s33, v44
	v_add_f16_e32 v34, v50, v34
	v_fma_f16 v50, v29, s20, -v59
	v_add_f16_e32 v17, v18, v17
	v_fma_f16 v18, v29, s21, v73
	v_mul_f16_sdwa v74, v16, s23 dst_sel:DWORD dst_unused:UNUSED_PAD src0_sel:WORD_1 src1_sel:DWORD
	v_add_f16_e32 v42, v44, v42
	v_fma_f16 v44, v19, s16, v64
	v_add_f16_e32 v34, v50, v34
	v_fma_f16 v50, v30, s21, -v60
	v_add_f16_e32 v17, v18, v17
	v_fma_f16 v18, v30, s19, v74
	v_mul_f16_sdwa v75, v11, s6 dst_sel:DWORD dst_unused:UNUSED_PAD src0_sel:WORD_1 src1_sel:DWORD
	v_add_f16_e32 v42, v44, v42
	;; [unrolled: 7-line block ×4, first 2 shown]
	v_fma_f16 v44, v11, s6, v67
	v_add_f16_e32 v34, v50, v34
	v_fma_f16 v50, v33, s25, -v63
	v_mul_f16_e32 v55, 0xbb29, v24
	v_add_f16_e32 v17, v18, v17
	v_fma_f16 v18, v33, s24, v77
	v_mul_f16_e32 v37, 0xb8d2, v38
	v_add_f16_e32 v42, v44, v42
	v_fma_f16 v44, v12, s26, v68
	v_add_f16_e32 v50, v50, v34
	v_fma_f16 v34, v38, s21, v55
	v_mul_f16_e32 v56, 0xba62, v8
	v_add_f16_e32 v17, v18, v17
	v_fma_f16 v18, v24, s34, v37
	v_mul_f16_e32 v40, 0xb461, v39
	v_add_f16_e32 v42, v44, v42
	v_fma_f16 v44, v10, s9, v69
	v_add_f16_sdwa v34, v7, v34 dst_sel:DWORD dst_unused:UNUSED_PAD src0_sel:WORD_1 src1_sel:DWORD
	v_fma_f16 v51, v39, s24, v56
	v_mul_f16_e32 v58, 0x31e1, v19
	v_add_f16_sdwa v18, v7, v18 dst_sel:DWORD dst_unused:UNUSED_PAD src0_sel:WORD_1 src1_sel:DWORD
	v_fma_f16 v20, v8, s7, v40
	v_mul_f16_e32 v78, 0x3b76, v41
	v_add_f16_e32 v42, v44, v42
	v_fma_f16 v44, v25, s18, -v70
	v_add_f16_e32 v34, v51, v34
	v_fma_f16 v51, v41, s19, v58
	v_mul_f16_e32 v59, 0x3bb2, v15
	v_add_f16_e32 v18, v20, v18
	v_fma_f16 v20, v19, s14, v78
	v_mul_f16_e32 v79, 0xbacd, v43
	v_add_f16_e32 v44, v7, v44
	v_fma_f16 v64, v26, s22, -v71
	v_add_f16_e32 v34, v51, v34
	v_fma_f16 v51, v43, s18, v59
	v_mul_f16_e32 v60, 0x3964, v16
	v_add_f16_e32 v18, v20, v18
	;; [unrolled: 8-line block ×4, first 2 shown]
	v_fma_f16 v20, v11, s16, v81
	v_mul_f16_e32 v82, 0xbbdd, v47
	v_add_f16_e32 v44, v64, v44
	v_fma_f16 v64, v30, s19, -v74
	v_add_f16_e32 v34, v51, v34
	v_fma_f16 v51, v47, s17, v57
	v_add_f16_e32 v18, v20, v18
	v_fma_f16 v20, v12, s29, v82
	v_mul_f16_e32 v83, 0x3722, v48
	v_add_f16_e32 v44, v64, v44
	v_fma_f16 v64, v31, s17, -v75
	v_add_f16_e32 v51, v51, v34
	v_mul_f16_e32 v34, 0xbacd, v48
	v_add_f16_e32 v18, v20, v18
	v_fma_f16 v20, v10, s30, v83
	v_mul_f16_sdwa v84, v24, s9 dst_sel:DWORD dst_unused:UNUSED_PAD src0_sel:WORD_1 src1_sel:DWORD
	v_add_f16_e32 v44, v64, v44
	v_fma_f16 v64, v32, s20, -v76
	v_fma_f16 v52, v10, s15, v34
	v_mul_f16_sdwa v62, v24, s30 dst_sel:DWORD dst_unused:UNUSED_PAD src0_sel:WORD_1 src1_sel:DWORD
	v_add_f16_e32 v18, v20, v18
	v_fma_f16 v20, v25, s24, v84
	v_mul_f16_sdwa v85, v8, s31 dst_sel:DWORD dst_unused:UNUSED_PAD src0_sel:WORD_1 src1_sel:DWORD
	v_fma_f16 v37, v24, s9, v37
	v_add_f16_e32 v44, v64, v44
	v_fma_f16 v64, v33, s24, -v77
	v_add_f16_e32 v51, v52, v51
	v_fma_f16 v52, v25, s21, -v62
	v_mul_f16_sdwa v63, v8, s9 dst_sel:DWORD dst_unused:UNUSED_PAD src0_sel:WORD_1 src1_sel:DWORD
	v_add_f16_e32 v20, v7, v20
	v_fma_f16 v21, v26, s18, v85
	v_mul_f16_sdwa v86, v19, s26 dst_sel:DWORD dst_unused:UNUSED_PAD src0_sel:WORD_1 src1_sel:DWORD
	v_add_f16_sdwa v37, v7, v37 dst_sel:DWORD dst_unused:UNUSED_PAD src0_sel:WORD_1 src1_sel:DWORD
	v_fma_f16 v40, v8, s31, v40
	v_add_f16_e32 v44, v64, v44
	v_add_f16_e32 v52, v7, v52
	v_fma_f16 v53, v26, s24, -v63
	v_mul_f16_sdwa v64, v19, s29 dst_sel:DWORD dst_unused:UNUSED_PAD src0_sel:WORD_1 src1_sel:DWORD
	v_add_f16_e32 v20, v21, v20
	v_fma_f16 v21, v28, s20, v86
	v_mul_f16_sdwa v87, v15, s15 dst_sel:DWORD dst_unused:UNUSED_PAD src0_sel:WORD_1 src1_sel:DWORD
	v_add_f16_e32 v37, v40, v37
	v_fma_f16 v40, v19, s26, v78
	v_add_f16_e32 v52, v53, v52
	v_fma_f16 v53, v28, s19, -v64
	v_mul_f16_sdwa v65, v15, s31 dst_sel:DWORD dst_unused:UNUSED_PAD src0_sel:WORD_1 src1_sel:DWORD
	v_add_f16_e32 v20, v21, v20
	v_fma_f16 v21, v29, s22, v87
	v_mul_f16_sdwa v88, v16, s6 dst_sel:DWORD dst_unused:UNUSED_PAD src0_sel:WORD_1 src1_sel:DWORD
	v_add_f16_e32 v37, v40, v37
	v_fma_f16 v40, v15, s15, v79
	;; [unrolled: 8-line block ×5, first 2 shown]
	v_add_f16_e32 v52, v53, v52
	v_fma_f16 v53, v32, s17, -v68
	v_mul_f16_sdwa v69, v10, s15 dst_sel:DWORD dst_unused:UNUSED_PAD src0_sel:WORD_1 src1_sel:DWORD
	v_add_f16_e32 v20, v21, v20
	v_fma_f16 v21, v33, s21, v91
	v_mul_f16_e32 v35, 0xbacd, v38
	v_add_f16_e32 v37, v40, v37
	v_fma_f16 v40, v10, s8, v83
	v_add_f16_e32 v52, v53, v52
	v_fma_f16 v53, v33, s22, -v69
	v_mul_f16_e32 v70, 0xb964, v24
	v_add_f16_e32 v20, v21, v20
	v_fma_f16 v21, v24, s33, v35
	v_mul_f16_e32 v36, 0x3722, v39
	v_add_f16_e32 v37, v40, v37
	v_fma_f16 v40, v25, s24, -v84
	v_add_f16_e32 v54, v53, v52
	v_fma_f16 v52, v38, s25, v70
	v_mul_f16_e32 v71, 0xbbf7, v8
	v_add_f16_sdwa v21, v7, v21 dst_sel:DWORD dst_unused:UNUSED_PAD src0_sel:WORD_1 src1_sel:DWORD
	v_fma_f16 v22, v8, s30, v36
	v_mul_f16_e32 v92, 0x2de8, v41
	v_add_f16_e32 v40, v7, v40
	v_fma_f16 v78, v26, s18, -v85
	v_add_f16_sdwa v52, v7, v52 dst_sel:DWORD dst_unused:UNUSED_PAD src0_sel:WORD_1 src1_sel:DWORD
	v_fma_f16 v53, v39, s17, v71
	v_mul_f16_e32 v72, 0xba62, v19
	v_add_f16_e32 v21, v22, v21
	v_fma_f16 v22, v19, s6, v92
	v_mul_f16_e32 v93, 0xb8d2, v43
	v_add_f16_e32 v40, v78, v40
	v_fma_f16 v78, v28, s20, -v86
	v_add_f16_e32 v52, v53, v52
	v_fma_f16 v53, v41, s24, v72
	v_mul_f16_e32 v73, 0xb1e1, v15
	v_add_f16_e32 v21, v22, v21
	v_fma_f16 v22, v15, s9, v93
	v_mul_f16_e32 v94, 0x3b76, v45
	v_add_f16_e32 v40, v78, v40
	v_fma_f16 v78, v29, s22, -v87
	v_add_f16_e32 v52, v53, v52
	v_fma_f16 v53, v43, s19, v73
	v_mul_f16_e32 v74, 0x3836, v16
	v_add_f16_e32 v21, v22, v21
	v_fma_f16 v22, v16, s14, v94
	v_mul_f16_e32 v95, 0xbbdd, v46
	v_add_f16_e32 v40, v78, v40
	v_fma_f16 v78, v30, s17, -v88
	v_add_f16_e32 v52, v53, v52
	v_fma_f16 v53, v45, s22, v74
	v_mul_f16_e32 v75, 0x3bb2, v11
	v_add_f16_e32 v21, v22, v21
	v_fma_f16 v22, v11, s29, v95
	v_mul_f16_e32 v96, 0x39e9, v47
	v_add_f16_e32 v40, v78, v40
	v_fma_f16 v78, v31, s25, -v89
	v_add_f16_e32 v52, v53, v52
	v_fma_f16 v53, v46, s18, v75
	v_mul_f16_e32 v76, 0x3b29, v12
	v_add_f16_e32 v21, v22, v21
	v_fma_f16 v22, v12, s28, v96
	v_mul_f16_e32 v97, 0xb461, v48
	v_add_f16_e32 v40, v78, v40
	v_fma_f16 v78, v32, s19, -v90
	v_add_f16_e32 v52, v53, v52
	v_fma_f16 v53, v47, s21, v76
	v_mul_f16_e32 v77, 0x35c8, v10
	v_add_f16_e32 v21, v22, v21
	v_fma_f16 v22, v10, s31, v97
	v_add_f16_e32 v40, v78, v40
	v_fma_f16 v78, v33, s21, -v91
	v_add_f16_e32 v52, v53, v52
	v_fma_f16 v53, v48, s20, v77
	s_mov_b32 s31, 0x3b7639e9
	v_add_f16_e32 v40, v78, v40
	v_add_f16_e32 v78, v53, v52
	s_mov_b32 s29, 0xb964b5c8
	v_pk_mul_f16 v52, v25, s31
	s_mov_b32 s33, 0x39e92de8
	v_fma_f16 v35, v24, s15, v35
	v_pk_fma_f16 v79, v24, s29, v52 op_sel:[0,0,1] op_sel_hi:[1,1,0]
	v_pk_fma_f16 v80, v24, s29, v52 op_sel:[0,0,1] op_sel_hi:[1,1,0] neg_lo:[1,0,0] neg_hi:[1,0,0]
	s_mov_b32 s29, 0xffff
	s_mov_b32 s31, 0xbbf7b964
	v_pk_mul_f16 v53, v26, s33
	v_mul_f16_sdwa v98, v24, s15 dst_sel:DWORD dst_unused:UNUSED_PAD src0_sel:WORD_1 src1_sel:DWORD
	v_add_f16_sdwa v35, v7, v35 dst_sel:DWORD dst_unused:UNUSED_PAD src0_sel:WORD_1 src1_sel:DWORD
	v_fma_f16 v36, v8, s8, v36
	v_bfi_b32 v52, s29, v79, v80
	v_pk_fma_f16 v81, v8, s31, v53 op_sel:[0,0,1] op_sel_hi:[1,1,0]
	v_pk_fma_f16 v82, v8, s31, v53 op_sel:[0,0,1] op_sel_hi:[1,1,0] neg_lo:[1,0,0] neg_hi:[1,0,0]
	v_add_f16_e32 v21, v22, v21
	v_fma_f16 v22, v25, s22, v98
	v_mul_f16_sdwa v99, v8, s8 dst_sel:DWORD dst_unused:UNUSED_PAD src0_sel:WORD_1 src1_sel:DWORD
	v_add_f16_e32 v35, v36, v35
	v_fma_f16 v36, v19, s27, v92
	v_pk_add_f16 v52, v7, v52 op_sel:[1,0] op_sel_hi:[0,1]
	v_bfi_b32 v53, s29, v81, v82
	s_mov_b32 s33, 0x3722b8d2
	v_add_f16_e32 v22, v7, v22
	v_fma_f16 v100, v26, s21, v99
	v_add_f16_e32 v35, v36, v35
	v_fma_f16 v36, v15, s34, v93
	v_pk_add_f16 v52, v53, v52
	s_mov_b32 s31, 0xba62bb29
	v_pk_mul_f16 v53, v28, s33
	v_add_f16_e32 v22, v100, v22
	v_mul_f16_sdwa v100, v19, s27 dst_sel:DWORD dst_unused:UNUSED_PAD src0_sel:WORD_1 src1_sel:DWORD
	v_add_f16_e32 v35, v36, v35
	v_fma_f16 v36, v16, s26, v94
	v_pk_fma_f16 v83, v19, s31, v53 op_sel:[0,0,1] op_sel_hi:[1,1,0]
	v_pk_fma_f16 v84, v19, s31, v53 op_sel:[0,0,1] op_sel_hi:[1,1,0] neg_lo:[1,0,0] neg_hi:[1,0,0]
	v_fma_f16 v101, v28, s17, v100
	v_add_f16_e32 v35, v36, v35
	v_fma_f16 v36, v11, s23, v95
	v_bfi_b32 v53, s29, v83, v84
	s_mov_b32 s33, 0x2de8bbdd
	v_add_f16_e32 v22, v101, v22
	v_mul_f16_sdwa v101, v15, s34 dst_sel:DWORD dst_unused:UNUSED_PAD src0_sel:WORD_1 src1_sel:DWORD
	v_add_f16_e32 v35, v36, v35
	v_fma_f16 v36, v12, s16, v96
	v_pk_add_f16 v52, v53, v52
	s_mov_b32 s31, 0xb1e1bbf7
	v_pk_mul_f16 v53, v29, s33
	v_fma_f16 v102, v29, s24, v101
	v_add_f16_e32 v35, v36, v35
	v_fma_f16 v36, v10, s7, v97
	v_pk_fma_f16 v85, v15, s31, v53 op_sel:[0,0,1] op_sel_hi:[1,1,0]
	v_pk_fma_f16 v86, v15, s31, v53 op_sel:[0,0,1] op_sel_hi:[1,1,0] neg_lo:[1,0,0] neg_hi:[1,0,0]
	v_add_f16_e32 v22, v102, v22
	v_mul_f16_sdwa v102, v16, s26 dst_sel:DWORD dst_unused:UNUSED_PAD src0_sel:WORD_1 src1_sel:DWORD
	v_add_f16_e32 v35, v36, v35
	v_fma_f16 v36, v25, s22, -v98
	v_bfi_b32 v53, s29, v85, v86
	s_mov_b32 s33, 0xb461bacd
	v_fma_f16 v103, v30, s20, v102
	v_add_f16_e32 v36, v7, v36
	v_fma_f16 v92, v26, s21, -v99
	v_pk_add_f16 v52, v53, v52
	s_mov_b32 s31, 0x3836bbb2
	v_pk_mul_f16 v53, v30, s33
	v_add_f16_e32 v22, v103, v22
	v_mul_f16_sdwa v103, v11, s23 dst_sel:DWORD dst_unused:UNUSED_PAD src0_sel:WORD_1 src1_sel:DWORD
	v_add_f16_e32 v36, v92, v36
	v_fma_f16 v92, v28, s17, -v100
	v_pk_fma_f16 v87, v16, s31, v53 op_sel:[0,0,1] op_sel_hi:[1,1,0]
	v_pk_fma_f16 v88, v16, s31, v53 op_sel:[0,0,1] op_sel_hi:[1,1,0] neg_lo:[1,0,0] neg_hi:[1,0,0]
	v_fma_f16 v104, v31, s19, v103
	v_add_f16_e32 v36, v92, v36
	v_fma_f16 v92, v29, s24, -v101
	v_bfi_b32 v53, s29, v87, v88
	s_mov_b32 s33, 0xb8d2b461
	v_add_f16_e32 v22, v104, v22
	v_mul_f16_sdwa v104, v12, s16 dst_sel:DWORD dst_unused:UNUSED_PAD src0_sel:WORD_1 src1_sel:DWORD
	v_add_f16_e32 v36, v92, v36
	v_fma_f16 v92, v30, s20, -v102
	v_pk_add_f16 v52, v53, v52
	s_mov_b32 s31, 0x3bb2ba62
	v_pk_mul_f16 v53, v31, s33
	v_fma_f16 v105, v32, s25, v104
	v_add_f16_e32 v36, v92, v36
	v_fma_f16 v92, v31, s19, -v103
	v_pk_fma_f16 v89, v11, s31, v53 op_sel:[0,0,1] op_sel_hi:[1,1,0]
	v_pk_fma_f16 v90, v11, s31, v53 op_sel:[0,0,1] op_sel_hi:[1,1,0] neg_lo:[1,0,0] neg_hi:[1,0,0]
	s_mov_b32 s33, 0xbacd3722
	v_add_f16_e32 v22, v105, v22
	v_mul_f16_sdwa v105, v10, s7 dst_sel:DWORD dst_unused:UNUSED_PAD src0_sel:WORD_1 src1_sel:DWORD
	v_add_f16_e32 v36, v92, v36
	v_fma_f16 v92, v32, s25, -v104
	v_bfi_b32 v53, s29, v89, v90
	s_mov_b32 s31, 0x3b29b836
	v_pk_mul_f16 v91, v32, s33
	v_add_f16_e32 v36, v92, v36
	v_fma_f16 v92, v33, s18, -v105
	v_pk_add_f16 v53, v53, v52
	v_pk_fma_f16 v52, v12, s31, v91 op_sel:[0,0,1] op_sel_hi:[1,1,0]
	v_pk_fma_f16 v91, v12, s31, v91 op_sel:[0,0,1] op_sel_hi:[1,1,0] neg_lo:[1,0,0] neg_hi:[1,0,0]
	v_add_f16_e32 v36, v92, v36
	v_bfi_b32 v92, s29, v52, v91
	s_mov_b32 s33, 0xbbdd3b76
	v_pk_add_f16 v92, v92, v53
	s_mov_b32 s31, 0x35c8b1e1
	v_pk_mul_f16 v53, v33, s33
	v_pk_fma_f16 v93, v10, s31, v53 op_sel:[0,0,1] op_sel_hi:[1,1,0]
	v_pk_fma_f16 v94, v10, s31, v53 op_sel:[0,0,1] op_sel_hi:[1,1,0] neg_lo:[1,0,0] neg_hi:[1,0,0]
	v_bfi_b32 v93, s29, v93, v94
	v_fma_f16 v55, v38, s21, -v55
	v_fma_f16 v38, v38, s25, -v70
	v_pk_add_f16 v92, v93, v92
	v_mul_f16_sdwa v93, v24, s26 dst_sel:DWORD dst_unused:UNUSED_PAD src0_sel:WORD_1 src1_sel:DWORD
	v_fma_f16 v56, v39, s24, -v56
	v_fma_f16 v39, v39, s17, -v71
	v_add_f16_sdwa v38, v7, v38 dst_sel:DWORD dst_unused:UNUSED_PAD src0_sel:WORD_1 src1_sel:DWORD
	v_fma_f16 v95, v25, s20, -v93
	v_mul_f16_sdwa v96, v8, s28 dst_sel:DWORD dst_unused:UNUSED_PAD src0_sel:WORD_1 src1_sel:DWORD
	v_add_f16_e32 v38, v39, v38
	v_fma_f16 v39, v41, s24, -v72
	v_add_f16_e32 v95, v7, v95
	v_fma_f16 v97, v26, s25, -v96
	v_add_f16_sdwa v55, v7, v55 dst_sel:DWORD dst_unused:UNUSED_PAD src0_sel:WORD_1 src1_sel:DWORD
	v_add_f16_e32 v38, v39, v38
	v_fma_f16 v39, v43, s19, -v73
	v_add_f16_e32 v95, v97, v95
	v_mul_f16_sdwa v97, v19, s30 dst_sel:DWORD dst_unused:UNUSED_PAD src0_sel:WORD_1 src1_sel:DWORD
	v_add_f16_e32 v55, v56, v55
	v_fma_f16 v56, v41, s19, -v58
	v_add_f16_e32 v38, v39, v38
	v_fma_f16 v39, v45, s22, -v74
	v_fma_f16 v98, v28, s21, -v97
	v_add_f16_e32 v55, v56, v55
	v_fma_f16 v56, v43, s18, -v59
	v_add_f16_e32 v38, v39, v38
	v_fma_f16 v39, v46, s18, -v75
	v_pk_add_f16 v43, v7, v79 op_sel:[1,0] op_sel_hi:[0,1]
	v_add_f16_e32 v95, v98, v95
	v_mul_f16_sdwa v98, v15, s27 dst_sel:DWORD dst_unused:UNUSED_PAD src0_sel:WORD_1 src1_sel:DWORD
	v_add_f16_e32 v55, v56, v55
	v_fma_f16 v56, v45, s25, -v60
	v_add_f16_e32 v38, v39, v38
	v_fma_f16 v41, v47, s21, -v76
	v_pk_add_f16 v43, v81, v43
	v_fma_f16 v99, v29, s17, -v98
	v_add_f16_e32 v55, v56, v55
	v_fma_f16 v56, v46, s20, -v61
	v_add_f16_e32 v38, v41, v38
	v_fma_f16 v41, v48, s20, -v77
	v_pk_add_f16 v46, v83, v43
	v_add_f16_e32 v95, v99, v95
	v_mul_f16_sdwa v99, v16, s7 dst_sel:DWORD dst_unused:UNUSED_PAD src0_sel:WORD_1 src1_sel:DWORD
	v_add_f16_e32 v55, v56, v55
	v_fma_f16 v56, v25, s21, v62
	v_add_f16_e32 v41, v41, v38
	v_lshl_add_u32 v38, v3, 6, v0
	v_pk_add_f16 v46, v85, v46
	v_fma_f16 v48, v25, s20, v93
	v_pack_b32_f16 v35, v36, v35
	v_pk_mul_f16 v25, v25, s19 op_sel_hi:[1,0]
	v_fma_f16 v100, v30, s18, -v99
	v_add_f16_e32 v56, v7, v56
	v_fma_f16 v58, v26, s24, v63
	v_fma_f16 v39, v47, s17, -v57
	v_pk_add_f16 v46, v87, v46
	v_add_f16_e32 v48, v7, v48
	v_fma_f16 v57, v26, s25, v96
	ds_write2_b32 v38, v27, v35 offset1:7
	v_pk_fma_f16 v27, v24, s23, v25 op_sel:[0,0,1] op_sel_hi:[1,0,0] neg_lo:[1,0,0] neg_hi:[1,0,0]
	v_pk_mul_f16 v26, v26, s20 op_sel_hi:[1,0]
	v_pk_fma_f16 v24, v24, s23, v25 op_sel:[0,0,1] op_sel_hi:[1,0,0]
	v_add_f16_e32 v95, v100, v95
	v_mul_f16_sdwa v100, v11, s9 dst_sel:DWORD dst_unused:UNUSED_PAD src0_sel:WORD_1 src1_sel:DWORD
	v_add_f16_e32 v56, v58, v56
	v_fma_f16 v58, v28, s19, v64
	v_pk_add_f16 v47, v89, v46
	v_add_f16_sdwa v46, v7, v80 dst_sel:DWORD dst_unused:UNUSED_PAD src0_sel:WORD_1 src1_sel:DWORD
	v_add_f16_e32 v48, v57, v48
	v_fma_f16 v57, v28, s21, v97
	v_pk_add_f16 v27, v7, v27 op_sel:[1,0] op_sel_hi:[0,1]
	v_pk_fma_f16 v35, v8, s14, v26 op_sel:[0,0,1] op_sel_hi:[1,0,0] neg_lo:[1,0,0] neg_hi:[1,0,0]
	v_pk_mul_f16 v28, v28, s22 op_sel_hi:[1,0]
	v_pk_add_f16 v7, v7, v24 op_sel:[1,0] op_sel_hi:[0,1]
	v_pk_fma_f16 v8, v8, s14, v26 op_sel:[0,0,1] op_sel_hi:[1,0,0]
	v_fma_f16 v101, v31, s24, -v100
	v_add_f16_e32 v56, v58, v56
	v_fma_f16 v58, v29, s18, v65
	v_add_f16_e32 v48, v57, v48
	v_fma_f16 v57, v29, s17, v98
	v_pk_add_f16 v27, v35, v27
	v_pk_fma_f16 v35, v19, s15, v28 op_sel:[0,0,1] op_sel_hi:[1,0,0] neg_lo:[1,0,0] neg_hi:[1,0,0]
	v_pk_mul_f16 v29, v29, s25 op_sel_hi:[1,0]
	v_pk_add_f16 v7, v8, v7
	v_pk_fma_f16 v8, v19, s15, v28 op_sel:[0,0,1] op_sel_hi:[1,0,0]
	v_add_f16_e32 v95, v101, v95
	v_mul_f16_sdwa v101, v12, s15 dst_sel:DWORD dst_unused:UNUSED_PAD src0_sel:WORD_1 src1_sel:DWORD
	v_add_f16_e32 v56, v58, v56
	v_fma_f16 v58, v30, s25, v66
	v_add_f16_e32 v48, v57, v48
	v_fma_f16 v57, v30, s18, v99
	v_pk_add_f16 v27, v35, v27
	v_pk_fma_f16 v35, v15, s16, v29 op_sel:[0,0,1] op_sel_hi:[1,0,0] neg_lo:[1,0,0] neg_hi:[1,0,0]
	v_pk_mul_f16 v30, v30, s24 op_sel_hi:[1,0]
	v_pk_add_f16 v7, v8, v7
	v_pk_fma_f16 v8, v15, s16, v29 op_sel:[0,0,1] op_sel_hi:[1,0,0]
	v_fma_f16 v102, v32, s22, -v101
	v_add_f16_e32 v56, v58, v56
	v_fma_f16 v58, v31, s20, v67
	v_add_f16_e32 v48, v57, v48
	v_fma_f16 v57, v31, s24, v100
	v_pk_add_f16 v27, v35, v27
	v_pk_fma_f16 v35, v16, s9, v30 op_sel:[0,0,1] op_sel_hi:[1,0,0] neg_lo:[1,0,0] neg_hi:[1,0,0]
	v_pk_mul_f16 v31, v31, s21 op_sel_hi:[1,0]
	v_pk_add_f16 v7, v8, v7
	v_pk_fma_f16 v8, v16, s9, v30 op_sel:[0,0,1] op_sel_hi:[1,0,0]
	v_add_f16_e32 v95, v102, v95
	v_mul_f16_sdwa v102, v10, s23 dst_sel:DWORD dst_unused:UNUSED_PAD src0_sel:WORD_1 src1_sel:DWORD
	v_add_f16_e32 v56, v58, v56
	v_fma_f16 v58, v32, s17, v68
	v_add_f16_e32 v48, v57, v48
	v_fma_f16 v57, v32, s22, v101
	v_pk_add_f16 v27, v35, v27
	v_pk_fma_f16 v35, v11, s8, v31 op_sel:[0,0,1] op_sel_hi:[1,0,0] neg_lo:[1,0,0] neg_hi:[1,0,0]
	v_pk_mul_f16 v32, v32, s18 op_sel_hi:[1,0]
	v_pk_add_f16 v7, v8, v7
	v_pk_fma_f16 v8, v11, s8, v31 op_sel:[0,0,1] op_sel_hi:[1,0,0]
	v_fma_f16 v106, v33, s18, v105
	v_fma_f16 v103, v33, s19, -v102
	v_add_f16_e32 v56, v58, v56
	v_fma_f16 v58, v33, s22, v69
	v_add_f16_e32 v48, v57, v48
	v_fma_f16 v57, v33, s19, v102
	v_pk_add_f16 v27, v35, v27
	v_pk_fma_f16 v35, v12, s7, v32 op_sel:[0,0,1] op_sel_hi:[1,0,0] neg_lo:[1,0,0] neg_hi:[1,0,0]
	v_pk_mul_f16 v33, v33, s17 op_sel_hi:[1,0]
	v_pk_add_f16 v7, v8, v7
	v_pk_fma_f16 v8, v12, s7, v32 op_sel:[0,0,1] op_sel_hi:[1,0,0]
	v_pk_add_f16 v27, v35, v27
	v_pk_fma_f16 v35, v10, s6, v33 op_sel:[0,0,1] op_sel_hi:[1,0,0] neg_lo:[1,0,0] neg_hi:[1,0,0]
	v_pk_add_f16 v7, v8, v7
	v_pk_fma_f16 v8, v10, s6, v33 op_sel:[0,0,1] op_sel_hi:[1,0,0]
	v_pk_add_f16 v27, v35, v27
	v_pk_add_f16 v7, v8, v7
	v_add_f16_e32 v22, v106, v22
	v_alignbit_b32 v8, v27, v7, 16
	v_alignbit_b32 v7, v7, v27, 16
	ds_write2_b32 v38, v7, v8 offset0:8 offset1:9
	v_pack_b32_f16 v7, v20, v18
	v_pack_b32_f16 v8, v22, v21
	v_mul_f16_e32 v45, 0xb836, v10
	v_add_f16_e32 v46, v82, v46
	ds_write2_b32 v38, v8, v7 offset0:10 offset1:11
	v_pack_b32_f16 v7, v13, v9
	v_pack_b32_f16 v8, v17, v14
	v_add_f16_e32 v46, v84, v46
	ds_write2_b32 v38, v8, v7 offset0:12 offset1:13
	v_bfi_b32 v7, s29, v45, v47
	v_pk_mul_f16 v43, v10, s31
	v_add_f16_e32 v46, v86, v46
	v_pk_add_f16 v7, v34, v7 neg_lo:[0,1] neg_hi:[0,1]
	v_pk_add_f16 v8, v52, v47
	v_add_f16_e32 v46, v88, v46
	v_bfi_b32 v7, s29, v7, v8
	v_pack_b32_f16 v8, v39, v53
	v_bfi_b32 v9, s29, v55, v43
	v_add_f16_e32 v46, v90, v46
	v_pk_add_f16 v8, v8, v9
	v_add_f16_e32 v56, v58, v56
	v_add_f16_e32 v46, v91, v46
	v_pk_add_f16 v7, v7, v8
	v_add_f16_e32 v95, v103, v95
	v_add_f16_e32 v46, v94, v46
	;; [unrolled: 1-line block ×3, first 2 shown]
	v_alignbit_b32 v8, v41, v7, 16
	v_pack_b32_f16 v7, v56, v7
	v_alignbit_b32 v57, v78, v92, 16
	v_pack_b32_f16 v58, v95, v92
	v_pack_b32_f16 v49, v50, v49
	;; [unrolled: 1-line block ×5, first 2 shown]
	ds_write2_b32 v38, v7, v8 offset0:14 offset1:15
	v_pack_b32_f16 v7, v48, v46
	ds_write2_b32 v38, v58, v57 offset0:1 offset1:2
	ds_write2_b32 v38, v50, v49 offset0:3 offset1:4
	;; [unrolled: 1-line block ×3, first 2 shown]
	ds_write_b32 v38, v7 offset:64
.LBB0_15:
	s_or_b64 exec, exec, s[4:5]
	v_add_u32_e32 v7, 0x253, v3
	s_mov_b32 s4, 0xf0f1
	v_mul_u32_u24_sdwa v9, v7, s4 dst_sel:DWORD dst_unused:UNUSED_PAD src0_sel:WORD_0 src1_sel:DWORD
	v_lshrrev_b32_e32 v26, 20, v9
	v_mul_lo_u16_e32 v9, 17, v26
	v_add_u32_e32 v8, 0x2ca, v3
	v_sub_u16_e32 v7, v7, v9
	v_add_u32_e32 v9, 0x1dc, v3
	v_lshlrev_b32_e32 v27, 2, v7
	v_mul_u32_u24_sdwa v7, v8, s4 dst_sel:DWORD dst_unused:UNUSED_PAD src0_sel:WORD_0 src1_sel:DWORD
	v_mul_u32_u24_sdwa v10, v9, s4 dst_sel:DWORD dst_unused:UNUSED_PAD src0_sel:WORD_0 src1_sel:DWORD
	v_lshrrev_b32_e32 v28, 20, v7
	v_lshrrev_b32_e32 v34, 20, v10
	v_mul_lo_u16_e32 v7, 17, v28
	v_mul_lo_u16_e32 v10, 17, v34
	v_sub_u16_e32 v7, v8, v7
	v_add_u32_e32 v8, 0x165, v3
	v_sub_u16_e32 v9, v9, v10
	v_lshlrev_b32_e32 v35, 2, v9
	v_mul_u32_u24_sdwa v9, v8, s4 dst_sel:DWORD dst_unused:UNUSED_PAD src0_sel:WORD_0 src1_sel:DWORD
	v_lshrrev_b32_e32 v37, 20, v9
	v_mul_lo_u16_e32 v9, 17, v37
	v_lshlrev_b32_e32 v29, 2, v7
	v_add_u32_e32 v7, 0xee, v3
	v_sub_u16_e32 v8, v8, v9
	v_lshlrev_b32_e32 v38, 2, v8
	v_mul_u32_u24_sdwa v8, v7, s4 dst_sel:DWORD dst_unused:UNUSED_PAD src0_sel:WORD_0 src1_sel:DWORD
	s_movk_i32 s5, 0xf1
	v_add_u16_e32 v32, 0x77, v3
	v_lshrrev_b32_e32 v40, 20, v8
	v_mul_lo_u16_sdwa v33, v32, s5 dst_sel:DWORD dst_unused:UNUSED_PAD src0_sel:BYTE_0 src1_sel:DWORD
	v_mul_lo_u16_e32 v8, 17, v40
	s_load_dwordx2 s[2:3], s[2:3], 0x0
	s_waitcnt lgkmcnt(0)
	s_barrier
	global_load_dword v30, v27, s[12:13]
	global_load_dword v31, v29, s[12:13]
	v_sub_u16_e32 v7, v7, v8
	v_lshrrev_b16_e32 v43, 12, v33
	v_lshlrev_b32_e32 v41, 2, v7
	v_mul_lo_u16_e32 v7, 17, v43
	v_mul_lo_u16_sdwa v47, v3, s5 dst_sel:DWORD dst_unused:UNUSED_PAD src0_sel:BYTE_0 src1_sel:DWORD
	global_load_dword v36, v35, s[12:13]
	global_load_dword v39, v38, s[12:13]
	;; [unrolled: 1-line block ×3, first 2 shown]
	v_sub_u16_e32 v7, v32, v7
	v_mov_b32_e32 v44, 2
	v_lshrrev_b16_e32 v48, 12, v47
	v_lshlrev_b32_sdwa v45, v44, v7 dst_sel:DWORD dst_unused:UNUSED_PAD src0_sel:DWORD src1_sel:BYTE_0
	global_load_dword v46, v45, s[12:13]
	v_mul_lo_u16_e32 v7, 17, v48
	v_sub_u16_e32 v7, v3, v7
	v_lshlrev_b32_sdwa v49, v44, v7 dst_sel:DWORD dst_unused:UNUSED_PAD src0_sel:DWORD src1_sel:BYTE_0
	global_load_dword v50, v49, s[12:13]
	v_add_u32_e32 v8, 0xa00, v0
	ds_read2_b32 v[11:12], v0 offset1:119
	ds_read2_b32 v[13:14], v23 offset0:56 offset1:175
	ds_read2_b32 v[15:16], v4 offset0:110 offset1:229
	v_add_u32_e32 v7, 0x1200, v0
	v_add_u32_e32 v10, 0x600, v0
	ds_read_u16 v51, v0 offset:5238
	v_add_u32_e32 v9, 0x1600, v0
	ds_read2_b32 v[17:18], v8 offset0:74 offset1:193
	ds_read2_b32 v[19:20], v7 offset0:38 offset1:157
	;; [unrolled: 1-line block ×4, first 2 shown]
	v_mul_u32_u24_e32 v26, 0x88, v26
	v_mul_u32_u24_e32 v28, 0x88, v28
	;; [unrolled: 1-line block ×3, first 2 shown]
	v_add3_u32 v26, 0, v26, v27
	v_add3_u32 v27, 0, v28, v29
	s_mov_b32 s6, 0xffff
	v_add3_u32 v34, 0, v34, v35
	v_mul_u32_u24_e32 v48, 0x88, v48
	v_mul_u32_u24_e32 v37, 0x88, v37
	;; [unrolled: 1-line block ×4, first 2 shown]
	v_add3_u32 v48, 0, v48, v49
	v_add3_u32 v37, 0, v37, v38
	v_lshrrev_b16_e32 v38, 13, v47
	v_add3_u32 v43, 0, v43, v45
	v_add3_u32 v40, 0, v40, v41
	s_waitcnt vmcnt(0) lgkmcnt(0)
	s_barrier
	s_movk_i32 s5, 0x2b26
	s_movk_i32 s4, 0x3b00
	s_mov_b32 s7, 0xbcab
	s_movk_i32 s8, 0x39e0
	s_mov_b32 s14, 0xb9e0
	;; [unrolled: 2-line block ×3, first 2 shown]
	s_movk_i32 s9, 0x370e
	v_cmp_ne_u32_e32 vcc, 0, v3
	v_pk_mul_f16 v29, v24, v30 op_sel:[0,1]
	v_pk_mul_f16 v28, v25, v31 op_sel:[0,1]
	v_pk_fma_f16 v35, v25, v31, v28 op_sel:[0,0,1] op_sel_hi:[1,1,0] neg_lo:[0,0,1] neg_hi:[0,0,1]
	v_pk_fma_f16 v25, v25, v31, v28 op_sel:[0,0,1] op_sel_hi:[1,0,0]
	v_pk_fma_f16 v28, v24, v30, v29 op_sel:[0,0,1] op_sel_hi:[1,1,0] neg_lo:[0,0,1] neg_hi:[0,0,1]
	v_pk_fma_f16 v24, v24, v30, v29 op_sel:[0,0,1] op_sel_hi:[1,0,0]
	v_bfi_b32 v24, s6, v28, v24
	v_pk_mul_f16 v28, v51, v36 op_sel_hi:[0,1]
	v_pk_fma_f16 v29, v36, v20, v28 op_sel:[0,0,1] op_sel_hi:[1,1,0] neg_lo:[0,0,1] neg_hi:[0,0,1]
	v_pk_fma_f16 v20, v36, v20, v28 op_sel:[0,0,1] op_sel_hi:[1,0,0]
	v_pk_mul_f16 v28, v39, v19 op_sel:[0,1]
	v_bfi_b32 v20, s6, v29, v20
	v_pk_fma_f16 v29, v39, v19, v28 op_sel:[0,0,1] op_sel_hi:[1,1,0] neg_lo:[0,0,1] neg_hi:[0,0,1]
	v_pk_fma_f16 v19, v39, v19, v28 op_sel:[0,0,1] op_sel_hi:[1,0,0]
	v_pk_mul_f16 v28, v42, v14 op_sel:[0,1]
	v_bfi_b32 v19, s6, v29, v19
	;; [unrolled: 4-line block ×4, first 2 shown]
	v_pk_fma_f16 v29, v50, v18, v28 op_sel:[0,0,1] op_sel_hi:[1,1,0] neg_lo:[0,0,1] neg_hi:[0,0,1]
	v_pk_fma_f16 v18, v50, v18, v28 op_sel:[0,0,1] op_sel_hi:[1,0,0]
	v_bfi_b32 v18, s6, v29, v18
	v_bfi_b32 v25, s6, v35, v25
	v_pk_add_f16 v18, v11, v18 neg_lo:[0,1] neg_hi:[0,1]
	v_pk_add_f16 v25, v17, v25 neg_lo:[0,1] neg_hi:[0,1]
	;; [unrolled: 1-line block ×7, first 2 shown]
	v_pk_fma_f16 v11, v11, 2.0, v18 op_sel_hi:[1,0,1] neg_lo:[0,0,1] neg_hi:[0,0,1]
	v_pk_fma_f16 v17, v17, 2.0, v25 op_sel_hi:[1,0,1] neg_lo:[0,0,1] neg_hi:[0,0,1]
	;; [unrolled: 1-line block ×7, first 2 shown]
	ds_write2_b32 v48, v11, v18 offset1:17
	ds_write2_b32 v43, v12, v13 offset1:17
	;; [unrolled: 1-line block ×7, first 2 shown]
	v_mul_lo_u16_e32 v11, 34, v38
	v_sub_u16_e32 v39, v3, v11
	v_mov_b32_e32 v15, 6
	v_mul_u32_u24_sdwa v11, v39, v15 dst_sel:DWORD dst_unused:UNUSED_PAD src0_sel:BYTE_0 src1_sel:DWORD
	v_lshlrev_b32_e32 v16, 2, v11
	s_waitcnt lgkmcnt(0)
	s_barrier
	global_load_dwordx4 v[11:14], v16, s[12:13] offset:68
	global_load_dwordx2 v[19:20], v16, s[12:13] offset:84
	v_lshrrev_b16_e32 v40, 13, v33
	v_mul_lo_u16_e32 v16, 34, v40
	v_sub_u16_e32 v41, v32, v16
	v_mul_u32_u24_sdwa v15, v41, v15 dst_sel:DWORD dst_unused:UNUSED_PAD src0_sel:BYTE_0 src1_sel:DWORD
	v_lshlrev_b32_e32 v24, 2, v15
	global_load_dwordx4 v[15:18], v24, s[12:13] offset:68
	global_load_dwordx2 v[21:22], v24, s[12:13] offset:84
	ds_read2_b32 v[24:25], v0 offset1:119
	ds_read2_b32 v[26:27], v4 offset0:110 offset1:229
	ds_read2_b32 v[28:29], v9 offset0:20 offset1:139
	;; [unrolled: 1-line block ×6, first 2 shown]
	s_waitcnt lgkmcnt(5)
	v_lshrrev_b32_e32 v50, 16, v26
	s_waitcnt lgkmcnt(3)
	v_lshrrev_b32_e32 v51, 16, v30
	v_lshrrev_b32_e32 v42, 16, v28
	;; [unrolled: 1-line block ×4, first 2 shown]
	s_waitcnt lgkmcnt(2)
	v_lshrrev_b32_e32 v46, 16, v33
	s_waitcnt lgkmcnt(1)
	v_lshrrev_b32_e32 v47, 16, v35
	;; [unrolled: 2-line block ×3, first 2 shown]
	v_lshrrev_b32_e32 v49, 16, v29
	s_waitcnt vmcnt(0)
	s_barrier
	v_mul_f16_sdwa v52, v11, v50 dst_sel:DWORD dst_unused:UNUSED_PAD src0_sel:WORD_1 src1_sel:DWORD
	v_mul_f16_sdwa v53, v11, v26 dst_sel:DWORD dst_unused:UNUSED_PAD src0_sel:WORD_1 src1_sel:DWORD
	;; [unrolled: 1-line block ×3, first 2 shown]
	v_fma_f16 v26, v11, v26, -v52
	v_fma_f16 v11, v11, v50, v53
	v_fma_f16 v50, v12, v30, -v54
	v_mul_f16_sdwa v30, v12, v30 dst_sel:DWORD dst_unused:UNUSED_PAD src0_sel:WORD_1 src1_sel:DWORD
	v_fma_f16 v12, v12, v51, v30
	v_lshrrev_b32_e32 v30, 16, v32
	v_mul_f16_sdwa v51, v13, v30 dst_sel:DWORD dst_unused:UNUSED_PAD src0_sel:WORD_1 src1_sel:DWORD
	v_fma_f16 v51, v13, v32, -v51
	v_mul_f16_sdwa v32, v13, v32 dst_sel:DWORD dst_unused:UNUSED_PAD src0_sel:WORD_1 src1_sel:DWORD
	v_fma_f16 v13, v13, v30, v32
	v_lshrrev_b32_e32 v30, 16, v34
	v_mul_f16_sdwa v32, v14, v30 dst_sel:DWORD dst_unused:UNUSED_PAD src0_sel:WORD_1 src1_sel:DWORD
	;; [unrolled: 5-line block ×3, first 2 shown]
	v_fma_f16 v34, v19, v36, -v34
	v_mul_f16_sdwa v36, v19, v36 dst_sel:DWORD dst_unused:UNUSED_PAD src0_sel:WORD_1 src1_sel:DWORD
	v_fma_f16 v19, v19, v30, v36
	v_mul_f16_sdwa v30, v42, v20 dst_sel:DWORD dst_unused:UNUSED_PAD src0_sel:DWORD src1_sel:WORD_1
	v_fma_f16 v30, v28, v20, -v30
	v_mul_f16_sdwa v28, v28, v20 dst_sel:DWORD dst_unused:UNUSED_PAD src0_sel:DWORD src1_sel:WORD_1
	v_fma_f16 v20, v42, v20, v28
	v_mul_f16_sdwa v28, v43, v15 dst_sel:DWORD dst_unused:UNUSED_PAD src0_sel:DWORD src1_sel:WORD_1
	v_fma_f16 v28, v27, v15, -v28
	v_mul_f16_sdwa v27, v27, v15 dst_sel:DWORD dst_unused:UNUSED_PAD src0_sel:DWORD src1_sel:WORD_1
	;; [unrolled: 4-line block ×5, first 2 shown]
	v_fma_f16 v18, v47, v18, v35
	v_mul_f16_sdwa v35, v48, v21 dst_sel:DWORD dst_unused:UNUSED_PAD src0_sel:DWORD src1_sel:WORD_1
	v_mul_f16_sdwa v36, v37, v21 dst_sel:DWORD dst_unused:UNUSED_PAD src0_sel:DWORD src1_sel:WORD_1
	v_fma_f16 v35, v37, v21, -v35
	v_fma_f16 v21, v48, v21, v36
	v_mul_f16_sdwa v36, v49, v22 dst_sel:DWORD dst_unused:UNUSED_PAD src0_sel:DWORD src1_sel:WORD_1
	v_fma_f16 v36, v29, v22, -v36
	v_mul_f16_sdwa v29, v29, v22 dst_sel:DWORD dst_unused:UNUSED_PAD src0_sel:DWORD src1_sel:WORD_1
	v_fma_f16 v22, v49, v22, v29
	v_add_f16_e32 v29, v26, v30
	v_add_f16_e32 v37, v11, v20
	v_sub_f16_e32 v26, v26, v30
	v_sub_f16_e32 v11, v11, v20
	v_add_f16_e32 v20, v50, v34
	v_add_f16_e32 v30, v12, v19
	v_sub_f16_e32 v34, v50, v34
	v_sub_f16_e32 v12, v12, v19
	;; [unrolled: 4-line block ×4, first 2 shown]
	v_sub_f16_e32 v29, v29, v19
	v_sub_f16_e32 v37, v37, v42
	;; [unrolled: 1-line block ×4, first 2 shown]
	v_add_f16_e32 v47, v32, v34
	v_add_f16_e32 v48, v13, v12
	v_sub_f16_e32 v49, v32, v34
	v_sub_f16_e32 v50, v13, v12
	v_sub_f16_e32 v34, v34, v26
	v_sub_f16_e32 v12, v12, v11
	v_add_f16_e32 v14, v19, v14
	v_add_f16_e32 v19, v42, v43
	v_sub_f16_e32 v32, v26, v32
	v_sub_f16_e32 v13, v11, v13
	v_add_f16_e32 v26, v47, v26
	v_add_f16_e32 v11, v48, v11
	;; [unrolled: 1-line block ×3, first 2 shown]
	v_add_f16_sdwa v24, v19, v24 dst_sel:DWORD dst_unused:UNUSED_PAD src0_sel:DWORD src1_sel:WORD_1
	v_mul_f16_e32 v29, 0x3a52, v29
	v_mul_f16_e32 v37, 0x3a52, v37
	;; [unrolled: 1-line block ×8, first 2 shown]
	v_fma_f16 v14, v14, s7, v42
	v_fma_f16 v19, v19, s7, v24
	v_fma_f16 v20, v20, s5, v29
	v_fma_f16 v30, v30, s5, v37
	v_fma_f16 v43, v45, s8, -v43
	v_fma_f16 v47, v46, s8, -v47
	;; [unrolled: 1-line block ×4, first 2 shown]
	v_fma_f16 v45, v32, s15, v48
	v_fma_f16 v46, v13, s15, v49
	v_fma_f16 v34, v34, s4, -v48
	v_fma_f16 v12, v12, s4, -v49
	;; [unrolled: 1-line block ×4, first 2 shown]
	v_add_f16_e32 v20, v20, v14
	v_add_f16_e32 v30, v30, v19
	;; [unrolled: 1-line block ×6, first 2 shown]
	v_fma_f16 v29, v26, s9, v45
	v_fma_f16 v37, v11, s9, v46
	;; [unrolled: 1-line block ×6, first 2 shown]
	v_add_f16_e32 v13, v37, v20
	v_sub_f16_e32 v32, v30, v29
	v_add_f16_e32 v45, v11, v14
	v_sub_f16_e32 v46, v19, v26
	v_sub_f16_e32 v11, v14, v11
	v_add_f16_e32 v14, v26, v19
	v_sub_f16_e32 v19, v20, v37
	v_add_f16_e32 v20, v29, v30
	v_add_f16_e32 v26, v28, v36
	;; [unrolled: 1-line block ×3, first 2 shown]
	v_sub_f16_e32 v15, v15, v22
	v_add_f16_e32 v22, v27, v35
	v_add_f16_e32 v30, v16, v21
	v_sub_f16_e32 v28, v28, v36
	v_sub_f16_e32 v27, v27, v35
	;; [unrolled: 1-line block ×3, first 2 shown]
	v_add_f16_e32 v21, v31, v33
	v_add_f16_e32 v35, v17, v18
	v_sub_f16_e32 v31, v33, v31
	v_sub_f16_e32 v17, v18, v17
	v_add_f16_e32 v18, v22, v26
	v_add_f16_e32 v33, v30, v29
	v_sub_f16_e32 v48, v43, v12
	v_add_f16_e32 v49, v34, v47
	v_add_f16_e32 v12, v12, v43
	v_sub_f16_e32 v34, v47, v34
	v_sub_f16_e32 v36, v22, v26
	;; [unrolled: 1-line block ×7, first 2 shown]
	v_add_f16_e32 v43, v31, v27
	v_add_f16_e32 v47, v17, v16
	v_sub_f16_e32 v50, v31, v27
	v_sub_f16_e32 v51, v17, v16
	;; [unrolled: 1-line block ×4, first 2 shown]
	v_add_f16_e32 v18, v21, v18
	v_add_f16_e32 v21, v35, v33
	v_sub_f16_e32 v31, v28, v31
	v_sub_f16_e32 v17, v15, v17
	v_add_f16_e32 v28, v43, v28
	v_add_f16_e32 v15, v47, v15
	v_add_f16_e32 v33, v18, v25
	v_add_f16_sdwa v25, v21, v25 dst_sel:DWORD dst_unused:UNUSED_PAD src0_sel:DWORD src1_sel:WORD_1
	v_mul_f16_e32 v26, 0x3a52, v26
	v_mul_f16_e32 v29, 0x3a52, v29
	;; [unrolled: 1-line block ×8, first 2 shown]
	v_fma_f16 v18, v18, s7, v33
	v_fma_f16 v21, v21, s7, v25
	;; [unrolled: 1-line block ×4, first 2 shown]
	v_fma_f16 v35, v36, s8, -v35
	v_fma_f16 v43, v37, s8, -v43
	;; [unrolled: 1-line block ×4, first 2 shown]
	v_fma_f16 v36, v31, s15, v47
	v_fma_f16 v37, v17, s15, v50
	v_fma_f16 v27, v27, s4, -v47
	v_fma_f16 v16, v16, s4, -v50
	;; [unrolled: 1-line block ×4, first 2 shown]
	v_add_f16_e32 v22, v22, v18
	v_add_f16_e32 v30, v30, v21
	;; [unrolled: 1-line block ×6, first 2 shown]
	v_fma_f16 v26, v28, s9, v36
	v_fma_f16 v29, v15, s9, v37
	;; [unrolled: 1-line block ×6, first 2 shown]
	v_add_f16_e32 v17, v29, v22
	v_sub_f16_e32 v31, v30, v26
	v_add_f16_e32 v36, v15, v18
	v_sub_f16_e32 v37, v21, v28
	v_sub_f16_e32 v15, v18, v15
	v_add_f16_e32 v18, v28, v21
	v_sub_f16_e32 v21, v22, v29
	v_add_f16_e32 v22, v26, v30
	v_mul_u32_u24_e32 v26, 0x3b8, v38
	v_lshlrev_b32_sdwa v28, v44, v39 dst_sel:DWORD dst_unused:UNUSED_PAD src0_sel:DWORD src1_sel:BYTE_0
	v_add3_u32 v26, 0, v26, v28
	v_pack_b32_f16 v12, v12, v34
	v_pack_b32_f16 v11, v11, v14
	;; [unrolled: 1-line block ×4, first 2 shown]
	ds_write2_b32 v26, v12, v11 offset0:136 offset1:170
	v_pack_b32_f16 v11, v19, v20
	ds_write2_b32 v26, v24, v13 offset1:34
	v_pack_b32_f16 v13, v45, v46
	v_pack_b32_f16 v24, v48, v49
	ds_write_b32 v26, v11 offset:816
	v_mul_u32_u24_e32 v11, 0x3b8, v40
	v_lshlrev_b32_sdwa v12, v44, v41 dst_sel:DWORD dst_unused:UNUSED_PAD src0_sel:DWORD src1_sel:BYTE_0
	v_sub_f16_e32 v47, v35, v16
	v_add_f16_e32 v50, v27, v43
	ds_write2_b32 v26, v13, v24 offset0:68 offset1:102
	v_add3_u32 v11, 0, v11, v12
	v_pack_b32_f16 v12, v33, v25
	v_pack_b32_f16 v13, v17, v31
	v_add_f16_e32 v16, v16, v35
	v_sub_f16_e32 v27, v43, v27
	ds_write2_b32 v11, v12, v13 offset1:34
	v_pack_b32_f16 v12, v36, v37
	v_pack_b32_f16 v13, v47, v50
	ds_write2_b32 v11, v12, v13 offset0:68 offset1:102
	v_pack_b32_f16 v12, v16, v27
	v_pack_b32_f16 v13, v15, v18
	ds_write2_b32 v11, v12, v13 offset0:136 offset1:170
	v_pack_b32_f16 v12, v21, v22
	ds_write_b32 v11, v12 offset:816
	v_mul_u32_u24_e32 v11, 6, v3
	v_lshlrev_b32_e32 v24, 2, v11
	s_waitcnt lgkmcnt(0)
	s_barrier
	global_load_dwordx4 v[11:14], v24, s[12:13] offset:884
	global_load_dwordx2 v[19:20], v24, s[12:13] offset:900
	global_load_dwordx4 v[15:18], v24, s[12:13] offset:3740
	global_load_dwordx2 v[21:22], v24, s[12:13] offset:3756
	ds_read2_b32 v[24:25], v0 offset1:119
	ds_read2_b32 v[26:27], v4 offset0:110 offset1:229
	ds_read2_b32 v[28:29], v9 offset0:20 offset1:139
	;; [unrolled: 1-line block ×6, first 2 shown]
	s_waitcnt lgkmcnt(5)
	v_lshrrev_b32_e32 v45, 16, v26
	s_waitcnt lgkmcnt(4)
	v_lshrrev_b32_e32 v38, 16, v28
	v_lshrrev_b32_e32 v39, 16, v27
	s_waitcnt lgkmcnt(3)
	v_lshrrev_b32_e32 v40, 16, v31
	s_waitcnt lgkmcnt(2)
	;; [unrolled: 2-line block ×4, first 2 shown]
	v_lshrrev_b32_e32 v43, 16, v37
	v_lshrrev_b32_e32 v44, 16, v29
	s_waitcnt vmcnt(0)
	s_barrier
	v_mul_f16_sdwa v46, v11, v45 dst_sel:DWORD dst_unused:UNUSED_PAD src0_sel:WORD_1 src1_sel:DWORD
	v_fma_f16 v46, v11, v26, -v46
	v_mul_f16_sdwa v26, v11, v26 dst_sel:DWORD dst_unused:UNUSED_PAD src0_sel:WORD_1 src1_sel:DWORD
	v_fma_f16 v11, v11, v45, v26
	v_lshrrev_b32_e32 v26, 16, v30
	v_mul_f16_sdwa v45, v12, v26 dst_sel:DWORD dst_unused:UNUSED_PAD src0_sel:WORD_1 src1_sel:DWORD
	v_fma_f16 v45, v12, v30, -v45
	v_mul_f16_sdwa v30, v12, v30 dst_sel:DWORD dst_unused:UNUSED_PAD src0_sel:WORD_1 src1_sel:DWORD
	v_fma_f16 v12, v12, v26, v30
	v_lshrrev_b32_e32 v26, 16, v32
	;; [unrolled: 5-line block ×4, first 2 shown]
	v_mul_f16_sdwa v34, v19, v26 dst_sel:DWORD dst_unused:UNUSED_PAD src0_sel:WORD_1 src1_sel:DWORD
	v_fma_f16 v34, v19, v36, -v34
	v_mul_f16_sdwa v36, v19, v36 dst_sel:DWORD dst_unused:UNUSED_PAD src0_sel:WORD_1 src1_sel:DWORD
	v_fma_f16 v19, v19, v26, v36
	v_mul_f16_sdwa v26, v38, v20 dst_sel:DWORD dst_unused:UNUSED_PAD src0_sel:DWORD src1_sel:WORD_1
	v_fma_f16 v26, v28, v20, -v26
	v_mul_f16_sdwa v28, v28, v20 dst_sel:DWORD dst_unused:UNUSED_PAD src0_sel:DWORD src1_sel:WORD_1
	v_fma_f16 v20, v38, v20, v28
	v_mul_f16_sdwa v28, v39, v15 dst_sel:DWORD dst_unused:UNUSED_PAD src0_sel:DWORD src1_sel:WORD_1
	v_fma_f16 v28, v27, v15, -v28
	v_mul_f16_sdwa v27, v27, v15 dst_sel:DWORD dst_unused:UNUSED_PAD src0_sel:DWORD src1_sel:WORD_1
	;; [unrolled: 4-line block ×5, first 2 shown]
	v_fma_f16 v18, v42, v18, v35
	v_mul_f16_sdwa v35, v43, v21 dst_sel:DWORD dst_unused:UNUSED_PAD src0_sel:DWORD src1_sel:WORD_1
	v_mul_f16_sdwa v36, v37, v21 dst_sel:DWORD dst_unused:UNUSED_PAD src0_sel:DWORD src1_sel:WORD_1
	v_fma_f16 v35, v37, v21, -v35
	v_fma_f16 v21, v43, v21, v36
	v_mul_f16_sdwa v36, v44, v22 dst_sel:DWORD dst_unused:UNUSED_PAD src0_sel:DWORD src1_sel:WORD_1
	v_fma_f16 v36, v29, v22, -v36
	v_mul_f16_sdwa v29, v29, v22 dst_sel:DWORD dst_unused:UNUSED_PAD src0_sel:DWORD src1_sel:WORD_1
	v_fma_f16 v22, v44, v22, v29
	v_add_f16_e32 v29, v46, v26
	v_add_f16_e32 v37, v11, v20
	v_sub_f16_e32 v11, v11, v20
	v_add_f16_e32 v20, v45, v34
	v_add_f16_e32 v38, v12, v19
	v_sub_f16_e32 v26, v46, v26
	v_sub_f16_e32 v34, v45, v34
	;; [unrolled: 1-line block ×3, first 2 shown]
	v_add_f16_e32 v19, v30, v32
	v_add_f16_e32 v39, v13, v14
	v_sub_f16_e32 v30, v32, v30
	v_sub_f16_e32 v13, v14, v13
	v_add_f16_e32 v14, v20, v29
	v_add_f16_e32 v32, v38, v37
	v_sub_f16_e32 v40, v20, v29
	v_sub_f16_e32 v41, v38, v37
	v_sub_f16_e32 v29, v29, v19
	v_sub_f16_e32 v37, v37, v39
	v_sub_f16_e32 v20, v19, v20
	v_sub_f16_e32 v38, v39, v38
	v_add_f16_e32 v42, v30, v34
	v_add_f16_e32 v43, v13, v12
	v_sub_f16_e32 v44, v30, v34
	v_sub_f16_e32 v45, v13, v12
	;; [unrolled: 1-line block ×4, first 2 shown]
	v_add_f16_e32 v14, v19, v14
	v_add_f16_e32 v19, v39, v32
	v_sub_f16_e32 v30, v26, v30
	v_sub_f16_e32 v13, v11, v13
	v_add_f16_e32 v26, v42, v26
	v_add_f16_e32 v11, v43, v11
	;; [unrolled: 1-line block ×3, first 2 shown]
	v_add_f16_sdwa v24, v19, v24 dst_sel:DWORD dst_unused:UNUSED_PAD src0_sel:DWORD src1_sel:WORD_1
	v_mul_f16_e32 v29, 0x3a52, v29
	v_mul_f16_e32 v37, 0x3a52, v37
	;; [unrolled: 1-line block ×8, first 2 shown]
	v_fma_f16 v14, v14, s7, v32
	v_fma_f16 v19, v19, s7, v24
	;; [unrolled: 1-line block ×4, first 2 shown]
	v_fma_f16 v39, v40, s8, -v39
	v_fma_f16 v42, v41, s8, -v42
	;; [unrolled: 1-line block ×4, first 2 shown]
	v_fma_f16 v40, v30, s15, v43
	v_fma_f16 v41, v13, s15, v44
	v_fma_f16 v34, v34, s4, -v43
	v_fma_f16 v12, v12, s4, -v44
	;; [unrolled: 1-line block ×4, first 2 shown]
	v_add_f16_e32 v20, v20, v14
	v_add_f16_e32 v38, v38, v19
	;; [unrolled: 1-line block ×6, first 2 shown]
	v_fma_f16 v29, v26, s9, v40
	v_fma_f16 v37, v11, s9, v41
	;; [unrolled: 1-line block ×6, first 2 shown]
	v_add_f16_e32 v13, v37, v20
	v_sub_f16_e32 v30, v38, v29
	v_add_f16_e32 v40, v11, v14
	v_sub_f16_e32 v41, v19, v26
	v_sub_f16_e32 v11, v14, v11
	v_add_f16_e32 v14, v26, v19
	v_sub_f16_e32 v19, v20, v37
	v_add_f16_e32 v20, v29, v38
	v_add_f16_e32 v26, v28, v36
	;; [unrolled: 1-line block ×3, first 2 shown]
	v_sub_f16_e32 v28, v28, v36
	v_sub_f16_e32 v15, v15, v22
	v_add_f16_e32 v22, v27, v35
	v_add_f16_e32 v36, v16, v21
	v_sub_f16_e32 v27, v27, v35
	v_sub_f16_e32 v16, v16, v21
	v_add_f16_e32 v21, v31, v33
	v_add_f16_e32 v35, v17, v18
	;; [unrolled: 4-line block ×3, first 2 shown]
	v_sub_f16_e32 v43, v39, v12
	v_add_f16_e32 v44, v34, v42
	v_add_f16_e32 v12, v12, v39
	v_sub_f16_e32 v34, v42, v34
	v_sub_f16_e32 v37, v22, v26
	;; [unrolled: 1-line block ×7, first 2 shown]
	v_add_f16_e32 v39, v31, v27
	v_add_f16_e32 v42, v17, v16
	v_sub_f16_e32 v45, v31, v27
	v_sub_f16_e32 v46, v17, v16
	v_add_f16_e32 v18, v21, v18
	v_add_f16_e32 v21, v35, v33
	v_sub_f16_e32 v31, v28, v31
	v_sub_f16_e32 v17, v15, v17
	v_sub_f16_e32 v27, v27, v28
	v_sub_f16_e32 v16, v16, v15
	v_add_f16_e32 v28, v39, v28
	v_add_f16_e32 v15, v42, v15
	;; [unrolled: 1-line block ×3, first 2 shown]
	v_add_f16_sdwa v25, v21, v25 dst_sel:DWORD dst_unused:UNUSED_PAD src0_sel:DWORD src1_sel:WORD_1
	v_mul_f16_e32 v26, 0x3a52, v26
	v_mul_f16_e32 v29, 0x3a52, v29
	v_mul_f16_e32 v35, 0x2b26, v22
	v_mul_f16_e32 v39, 0x2b26, v36
	v_mul_f16_e32 v42, 0xb846, v45
	v_mul_f16_e32 v45, 0xb846, v46
	v_mul_f16_e32 v46, 0x3b00, v27
	v_mul_f16_e32 v47, 0x3b00, v16
	v_fma_f16 v18, v18, s7, v33
	v_fma_f16 v21, v21, s7, v25
	v_fma_f16 v22, v22, s5, v26
	v_fma_f16 v36, v36, s5, v29
	v_fma_f16 v35, v37, s8, -v35
	v_fma_f16 v39, v38, s8, -v39
	v_fma_f16 v26, v37, s14, -v26
	v_fma_f16 v29, v38, s14, -v29
	v_fma_f16 v37, v31, s15, v42
	v_fma_f16 v38, v17, s15, v45
	v_fma_f16 v27, v27, s4, -v42
	v_fma_f16 v16, v16, s4, -v45
	;; [unrolled: 1-line block ×4, first 2 shown]
	v_add_f16_e32 v22, v22, v18
	v_add_f16_e32 v36, v36, v21
	;; [unrolled: 1-line block ×6, first 2 shown]
	v_fma_f16 v26, v28, s9, v37
	v_fma_f16 v29, v15, s9, v38
	v_fma_f16 v27, v28, s9, v27
	v_fma_f16 v16, v15, s9, v16
	v_fma_f16 v28, v28, s9, v31
	v_fma_f16 v15, v15, s9, v17
	v_add_f16_e32 v17, v29, v22
	v_sub_f16_e32 v31, v36, v26
	v_add_f16_e32 v37, v15, v18
	v_sub_f16_e32 v38, v21, v28
	v_pack_b32_f16 v13, v13, v30
	v_pack_b32_f16 v17, v17, v31
	v_sub_f16_e32 v42, v35, v16
	v_add_f16_e32 v45, v27, v39
	v_sub_f16_e32 v15, v18, v15
	v_add_f16_e32 v18, v28, v21
	v_sub_f16_e32 v21, v22, v29
	v_add_f16_e32 v22, v26, v36
	v_pack_b32_f16 v26, v40, v41
	ds_write2_b32 v4, v13, v17 offset0:110 offset1:229
	v_pack_b32_f16 v4, v37, v38
	v_add_f16_e32 v16, v16, v35
	v_sub_f16_e32 v27, v39, v27
	v_pack_b32_f16 v28, v43, v44
	ds_write2_b32 v10, v26, v4 offset0:92 offset1:211
	v_pack_b32_f16 v4, v42, v45
	v_pack_b32_f16 v12, v12, v34
	ds_write2_b32 v8, v28, v4 offset0:74 offset1:193
	v_pack_b32_f16 v4, v16, v27
	;; [unrolled: 3-line block ×3, first 2 shown]
	v_pack_b32_f16 v24, v32, v24
	v_pack_b32_f16 v14, v19, v20
	;; [unrolled: 1-line block ×3, first 2 shown]
	ds_write2_b32 v7, v11, v4 offset0:38 offset1:157
	v_pack_b32_f16 v4, v21, v22
	ds_write2_b32 v0, v24, v19 offset1:119
	ds_write2_b32 v9, v14, v4 offset0:20 offset1:139
	s_waitcnt lgkmcnt(0)
	s_barrier
	ds_read_b32 v13, v0
	s_add_u32 s7, s12, 0x19c4
	v_lshlrev_b32_e32 v4, 2, v3
	s_addc_u32 s8, s13, 0
	v_sub_u32_e32 v9, 0, v4
                                        ; implicit-def: $vgpr12
                                        ; implicit-def: $vgpr10
                                        ; implicit-def: $vgpr11
                                        ; implicit-def: $vgpr7_vgpr8
	s_and_saveexec_b64 s[4:5], vcc
	s_xor_b64 s[4:5], exec, s[4:5]
	s_cbranch_execz .LBB0_17
; %bb.16:
	v_mov_b32_e32 v4, 0
	v_lshlrev_b64 v[7:8], 2, v[3:4]
	v_mov_b32_e32 v10, s8
	v_add_co_u32_e32 v7, vcc, s7, v7
	v_addc_co_u32_e32 v8, vcc, v10, v8, vcc
	global_load_dword v7, v[7:8], off
	ds_read_b32 v8, v9 offset:6664
	s_waitcnt lgkmcnt(0)
	v_pk_add_f16 v10, v13, v8 neg_lo:[0,1] neg_hi:[0,1]
	v_pk_add_f16 v8, v8, v13
	v_bfi_b32 v11, s6, v10, v8
	v_bfi_b32 v8, s6, v8, v10
	v_pk_mul_f16 v10, v11, 0.5 op_sel_hi:[1,0]
	v_pk_mul_f16 v11, v8, 0.5 op_sel_hi:[1,0]
                                        ; implicit-def: $vgpr13
	s_waitcnt vmcnt(0)
	v_pk_mul_f16 v12, v7, v10 op_sel:[1,0]
	v_pk_mul_f16 v7, v7, v10 op_sel_hi:[0,1]
	v_pk_fma_f16 v8, v8, 0.5, v12 op_sel_hi:[1,0,1]
	v_sub_f16_e32 v10, v11, v12
	v_sub_f16_sdwa v11, v12, v11 dst_sel:DWORD dst_unused:UNUSED_PAD src0_sel:WORD_1 src1_sel:WORD_1
	v_pk_add_f16 v12, v8, v7 op_sel:[0,1] op_sel_hi:[1,0]
	v_pk_add_f16 v8, v8, v7 op_sel:[0,1] op_sel_hi:[1,0] neg_lo:[0,1] neg_hi:[0,1]
	v_sub_f16_sdwa v10, v10, v7 dst_sel:DWORD dst_unused:UNUSED_PAD src0_sel:DWORD src1_sel:WORD_1
	v_sub_f16_e32 v11, v11, v7
	v_bfi_b32 v12, s6, v12, v8
	v_mov_b32_e32 v8, v4
	v_mov_b32_e32 v7, v3
.LBB0_17:
	s_andn2_saveexec_b64 s[4:5], s[4:5]
	s_cbranch_execz .LBB0_19
; %bb.18:
	v_mov_b32_e32 v11, 0
	ds_read_u16 v4, v11 offset:3334
	s_waitcnt lgkmcnt(1)
	v_alignbit_b32 v12, s0, v13, 16
	v_mov_b32_e32 v7, 0
	v_pk_add_f16 v12, v12, v13
	v_sub_f16_sdwa v10, v13, v13 dst_sel:DWORD dst_unused:UNUSED_PAD src0_sel:DWORD src1_sel:WORD_1
	v_mov_b32_e32 v8, 0
	s_waitcnt lgkmcnt(0)
	v_xor_b32_e32 v4, 0x8000, v4
	v_pack_b32_f16 v12, v12, 0
	ds_write_b16 v11, v4 offset:3334
.LBB0_19:
	s_or_b64 exec, exec, s[4:5]
	v_lshlrev_b64 v[7:8], 2, v[7:8]
	v_mov_b32_e32 v4, s8
	v_add_co_u32_e32 v7, vcc, s7, v7
	v_addc_co_u32_e32 v8, vcc, v4, v8, vcc
	global_load_dword v4, v[7:8], off offset:476
	s_waitcnt lgkmcnt(0)
	global_load_dword v13, v[7:8], off offset:952
	global_load_dword v14, v[7:8], off offset:1428
	ds_write_b16 v9, v11 offset:6666
	ds_write_b32 v0, v12
	ds_write_b16 v9, v10 offset:6664
	ds_read_b32 v10, v0 offset:476
	ds_read_b32 v11, v9 offset:6188
	global_load_dword v12, v[7:8], off offset:1904
	global_load_dword v15, v[7:8], off offset:2380
	;; [unrolled: 1-line block ×3, first 2 shown]
	s_mov_b32 s4, 0xffff
	s_waitcnt lgkmcnt(0)
	v_pk_add_f16 v7, v10, v11 neg_lo:[0,1] neg_hi:[0,1]
	v_pk_add_f16 v8, v10, v11
	v_bfi_b32 v10, s4, v7, v8
	v_bfi_b32 v7, s4, v8, v7
	v_pk_mul_f16 v8, v10, 0.5 op_sel_hi:[1,0]
	v_pk_mul_f16 v10, v7, 0.5 op_sel_hi:[1,0]
	s_waitcnt vmcnt(5)
	v_pk_mul_f16 v11, v4, v8 op_sel:[1,0]
	v_pk_mul_f16 v4, v4, v8 op_sel_hi:[0,1]
	v_pk_fma_f16 v7, v7, 0.5, v11 op_sel_hi:[1,0,1]
	v_sub_f16_e32 v8, v10, v11
	v_sub_f16_sdwa v10, v11, v10 dst_sel:DWORD dst_unused:UNUSED_PAD src0_sel:WORD_1 src1_sel:WORD_1
	v_pk_add_f16 v11, v7, v4 op_sel:[0,1] op_sel_hi:[1,0]
	v_pk_add_f16 v7, v7, v4 op_sel:[0,1] op_sel_hi:[1,0] neg_lo:[0,1] neg_hi:[0,1]
	v_sub_f16_sdwa v8, v8, v4 dst_sel:DWORD dst_unused:UNUSED_PAD src0_sel:DWORD src1_sel:WORD_1
	v_sub_f16_e32 v4, v10, v4
	v_bfi_b32 v7, s4, v11, v7
	ds_write_b16 v9, v4 offset:6190
	ds_write_b32 v0, v7 offset:476
	ds_write_b16 v9, v8 offset:6188
	ds_read_b32 v4, v0 offset:952
	ds_read_b32 v7, v9 offset:5712
	s_waitcnt lgkmcnt(0)
	v_pk_add_f16 v8, v4, v7 neg_lo:[0,1] neg_hi:[0,1]
	v_pk_add_f16 v4, v4, v7
	v_bfi_b32 v7, s4, v8, v4
	v_bfi_b32 v4, s4, v4, v8
	v_pk_mul_f16 v7, v7, 0.5 op_sel_hi:[1,0]
	v_pk_mul_f16 v8, v4, 0.5 op_sel_hi:[1,0]
	s_waitcnt vmcnt(4)
	v_pk_mul_f16 v10, v13, v7 op_sel:[1,0]
	v_pk_mul_f16 v7, v13, v7 op_sel_hi:[0,1]
	v_pk_fma_f16 v4, v4, 0.5, v10 op_sel_hi:[1,0,1]
	v_sub_f16_e32 v11, v8, v10
	v_sub_f16_sdwa v8, v10, v8 dst_sel:DWORD dst_unused:UNUSED_PAD src0_sel:WORD_1 src1_sel:WORD_1
	v_pk_add_f16 v10, v4, v7 op_sel:[0,1] op_sel_hi:[1,0]
	v_pk_add_f16 v4, v4, v7 op_sel:[0,1] op_sel_hi:[1,0] neg_lo:[0,1] neg_hi:[0,1]
	v_sub_f16_sdwa v11, v11, v7 dst_sel:DWORD dst_unused:UNUSED_PAD src0_sel:DWORD src1_sel:WORD_1
	v_sub_f16_e32 v7, v8, v7
	v_bfi_b32 v4, s4, v10, v4
	ds_write_b16 v9, v7 offset:5714
	ds_write_b32 v0, v4 offset:952
	ds_write_b16 v9, v11 offset:5712
	ds_read_b32 v4, v0 offset:1428
	ds_read_b32 v7, v9 offset:5236
	;; [unrolled: 23-line block ×4, first 2 shown]
	s_waitcnt lgkmcnt(0)
	v_pk_add_f16 v8, v4, v7 neg_lo:[0,1] neg_hi:[0,1]
	v_pk_add_f16 v4, v4, v7
	v_bfi_b32 v7, s4, v8, v4
	v_bfi_b32 v4, s4, v4, v8
	v_pk_mul_f16 v7, v7, 0.5 op_sel_hi:[1,0]
	v_pk_mul_f16 v4, v4, 0.5 op_sel_hi:[1,0]
	s_waitcnt vmcnt(1)
	v_pk_fma_f16 v8, v15, v7, v4 op_sel:[1,0,0]
	v_pk_mul_f16 v10, v15, v7 op_sel_hi:[0,1]
	v_pk_fma_f16 v11, v15, v7, v4 op_sel:[1,0,0] neg_lo:[1,0,0] neg_hi:[1,0,0]
	v_pk_fma_f16 v4, v15, v7, v4 op_sel:[1,0,0] neg_lo:[0,0,1] neg_hi:[0,0,1]
	v_pk_add_f16 v7, v8, v10 op_sel:[0,1] op_sel_hi:[1,0]
	v_pk_add_f16 v8, v8, v10 op_sel:[0,1] op_sel_hi:[1,0] neg_lo:[0,1] neg_hi:[0,1]
	v_pk_add_f16 v11, v11, v10 op_sel:[0,1] op_sel_hi:[1,0] neg_lo:[0,1] neg_hi:[0,1]
	;; [unrolled: 1-line block ×3, first 2 shown]
	v_bfi_b32 v7, s4, v7, v8
	v_bfi_b32 v4, s4, v11, v4
	ds_write_b32 v0, v7 offset:2380
	ds_write_b32 v9, v4 offset:4284
	ds_read_b32 v4, v0 offset:2856
	ds_read_b32 v7, v9 offset:3808
	s_waitcnt lgkmcnt(0)
	v_pk_add_f16 v8, v4, v7 neg_lo:[0,1] neg_hi:[0,1]
	v_pk_add_f16 v4, v4, v7
	v_bfi_b32 v7, s4, v8, v4
	v_bfi_b32 v4, s4, v4, v8
	v_pk_mul_f16 v7, v7, 0.5 op_sel_hi:[1,0]
	v_pk_mul_f16 v4, v4, 0.5 op_sel_hi:[1,0]
	s_waitcnt vmcnt(0)
	v_pk_fma_f16 v8, v16, v7, v4 op_sel:[1,0,0]
	v_pk_mul_f16 v10, v16, v7 op_sel_hi:[0,1]
	v_pk_fma_f16 v11, v16, v7, v4 op_sel:[1,0,0] neg_lo:[1,0,0] neg_hi:[1,0,0]
	v_pk_fma_f16 v4, v16, v7, v4 op_sel:[1,0,0] neg_lo:[0,0,1] neg_hi:[0,0,1]
	v_pk_add_f16 v7, v8, v10 op_sel:[0,1] op_sel_hi:[1,0]
	v_pk_add_f16 v8, v8, v10 op_sel:[0,1] op_sel_hi:[1,0] neg_lo:[0,1] neg_hi:[0,1]
	v_pk_add_f16 v11, v11, v10 op_sel:[0,1] op_sel_hi:[1,0] neg_lo:[0,1] neg_hi:[0,1]
	;; [unrolled: 1-line block ×3, first 2 shown]
	v_bfi_b32 v7, s4, v7, v8
	v_bfi_b32 v4, s4, v11, v4
	ds_write_b32 v0, v7 offset:2856
	ds_write_b32 v9, v4 offset:3808
	s_waitcnt lgkmcnt(0)
	s_barrier
	s_and_saveexec_b64 s[4:5], s[0:1]
	s_cbranch_execz .LBB0_22
; %bb.20:
	v_mul_lo_u32 v0, s3, v5
	v_mul_lo_u32 v4, s2, v6
	v_mad_u64_u32 v[5:6], s[0:1], s2, v5, 0
	v_lshl_add_u32 v9, v3, 2, 0
	v_lshlrev_b64 v[1:2], 2, v[1:2]
	v_add3_u32 v6, v6, v4, v0
	v_lshlrev_b64 v[5:6], 2, v[5:6]
	v_mov_b32_e32 v0, s11
	v_add_co_u32_e32 v5, vcc, s10, v5
	v_mov_b32_e32 v4, 0
	ds_read2_b32 v[7:8], v9 offset1:119
	v_addc_co_u32_e32 v0, vcc, v0, v6, vcc
	v_add_co_u32_e32 v1, vcc, v5, v1
	v_lshlrev_b64 v[5:6], 2, v[3:4]
	v_addc_co_u32_e32 v0, vcc, v0, v2, vcc
	v_add_co_u32_e32 v5, vcc, v1, v5
	v_addc_co_u32_e32 v6, vcc, v0, v6, vcc
	s_waitcnt lgkmcnt(0)
	global_store_dword v[5:6], v7, off
	v_add_u32_e32 v5, 0x77, v3
	v_mov_b32_e32 v6, v4
	v_lshlrev_b64 v[5:6], 2, v[5:6]
	v_add_u32_e32 v2, 0x200, v9
	v_add_co_u32_e32 v5, vcc, v1, v5
	v_addc_co_u32_e32 v6, vcc, v0, v6, vcc
	global_store_dword v[5:6], v8, off
	v_add_u32_e32 v5, 0xee, v3
	v_mov_b32_e32 v6, v4
	ds_read2_b32 v[7:8], v2 offset0:110 offset1:229
	v_lshlrev_b64 v[5:6], 2, v[5:6]
	v_add_u32_e32 v2, 0x600, v9
	v_add_co_u32_e32 v5, vcc, v1, v5
	v_addc_co_u32_e32 v6, vcc, v0, v6, vcc
	s_waitcnt lgkmcnt(0)
	global_store_dword v[5:6], v7, off
	v_add_u32_e32 v5, 0x165, v3
	v_mov_b32_e32 v6, v4
	v_lshlrev_b64 v[5:6], 2, v[5:6]
	s_movk_i32 s0, 0x76
	v_add_co_u32_e32 v5, vcc, v1, v5
	v_addc_co_u32_e32 v6, vcc, v0, v6, vcc
	global_store_dword v[5:6], v8, off
	v_add_u32_e32 v5, 0x1dc, v3
	v_mov_b32_e32 v6, v4
	ds_read2_b32 v[7:8], v2 offset0:92 offset1:211
	v_lshlrev_b64 v[5:6], 2, v[5:6]
	v_add_u32_e32 v2, 0xa00, v9
	v_add_co_u32_e32 v5, vcc, v1, v5
	v_addc_co_u32_e32 v6, vcc, v0, v6, vcc
	s_waitcnt lgkmcnt(0)
	global_store_dword v[5:6], v7, off
	v_add_u32_e32 v5, 0x253, v3
	v_mov_b32_e32 v6, v4
	v_lshlrev_b64 v[5:6], 2, v[5:6]
	v_add_co_u32_e32 v5, vcc, v1, v5
	v_addc_co_u32_e32 v6, vcc, v0, v6, vcc
	global_store_dword v[5:6], v8, off
	v_add_u32_e32 v5, 0x2ca, v3
	v_mov_b32_e32 v6, v4
	ds_read2_b32 v[7:8], v2 offset0:74 offset1:193
	v_lshlrev_b64 v[5:6], 2, v[5:6]
	v_add_u32_e32 v2, 0xe00, v9
	v_add_co_u32_e32 v5, vcc, v1, v5
	v_addc_co_u32_e32 v6, vcc, v0, v6, vcc
	s_waitcnt lgkmcnt(0)
	global_store_dword v[5:6], v7, off
	v_add_u32_e32 v5, 0x341, v3
	v_mov_b32_e32 v6, v4
	v_lshlrev_b64 v[5:6], 2, v[5:6]
	;; [unrolled: 15-line block ×4, first 2 shown]
	v_add_co_u32_e32 v5, vcc, v1, v5
	v_addc_co_u32_e32 v6, vcc, v0, v6, vcc
	global_store_dword v[5:6], v8, off
	v_add_u32_e32 v5, 0x594, v3
	v_mov_b32_e32 v6, v4
	ds_read2_b32 v[7:8], v2 offset0:20 offset1:139
	v_lshlrev_b64 v[5:6], 2, v[5:6]
	v_add_co_u32_e32 v5, vcc, v1, v5
	v_addc_co_u32_e32 v6, vcc, v0, v6, vcc
	s_waitcnt lgkmcnt(0)
	global_store_dword v[5:6], v7, off
	v_add_u32_e32 v5, 0x60b, v3
	v_mov_b32_e32 v6, v4
	v_lshlrev_b64 v[5:6], 2, v[5:6]
	v_add_co_u32_e32 v5, vcc, v1, v5
	v_addc_co_u32_e32 v6, vcc, v0, v6, vcc
	v_cmp_eq_u32_e32 vcc, s0, v3
	global_store_dword v[5:6], v8, off
	s_and_b64 exec, exec, vcc
	s_cbranch_execz .LBB0_22
; %bb.21:
	ds_read_b32 v3, v4 offset:6664
	v_add_co_u32_e32 v1, vcc, 0x1000, v1
	v_addc_co_u32_e32 v2, vcc, 0, v0, vcc
	s_waitcnt lgkmcnt(0)
	global_store_dword v[1:2], v3, off offset:2568
.LBB0_22:
	s_endpgm
	.section	.rodata,"a",@progbits
	.p2align	6, 0x0
	.amdhsa_kernel fft_rtc_fwd_len1666_factors_17_2_7_7_wgs_119_tpt_119_halfLds_half_op_CI_CI_unitstride_sbrr_R2C_dirReg
		.amdhsa_group_segment_fixed_size 0
		.amdhsa_private_segment_fixed_size 0
		.amdhsa_kernarg_size 104
		.amdhsa_user_sgpr_count 6
		.amdhsa_user_sgpr_private_segment_buffer 1
		.amdhsa_user_sgpr_dispatch_ptr 0
		.amdhsa_user_sgpr_queue_ptr 0
		.amdhsa_user_sgpr_kernarg_segment_ptr 1
		.amdhsa_user_sgpr_dispatch_id 0
		.amdhsa_user_sgpr_flat_scratch_init 0
		.amdhsa_user_sgpr_private_segment_size 0
		.amdhsa_uses_dynamic_stack 0
		.amdhsa_system_sgpr_private_segment_wavefront_offset 0
		.amdhsa_system_sgpr_workgroup_id_x 1
		.amdhsa_system_sgpr_workgroup_id_y 0
		.amdhsa_system_sgpr_workgroup_id_z 0
		.amdhsa_system_sgpr_workgroup_info 0
		.amdhsa_system_vgpr_workitem_id 0
		.amdhsa_next_free_vgpr 107
		.amdhsa_next_free_sgpr 35
		.amdhsa_reserve_vcc 1
		.amdhsa_reserve_flat_scratch 0
		.amdhsa_float_round_mode_32 0
		.amdhsa_float_round_mode_16_64 0
		.amdhsa_float_denorm_mode_32 3
		.amdhsa_float_denorm_mode_16_64 3
		.amdhsa_dx10_clamp 1
		.amdhsa_ieee_mode 1
		.amdhsa_fp16_overflow 0
		.amdhsa_exception_fp_ieee_invalid_op 0
		.amdhsa_exception_fp_denorm_src 0
		.amdhsa_exception_fp_ieee_div_zero 0
		.amdhsa_exception_fp_ieee_overflow 0
		.amdhsa_exception_fp_ieee_underflow 0
		.amdhsa_exception_fp_ieee_inexact 0
		.amdhsa_exception_int_div_zero 0
	.end_amdhsa_kernel
	.text
.Lfunc_end0:
	.size	fft_rtc_fwd_len1666_factors_17_2_7_7_wgs_119_tpt_119_halfLds_half_op_CI_CI_unitstride_sbrr_R2C_dirReg, .Lfunc_end0-fft_rtc_fwd_len1666_factors_17_2_7_7_wgs_119_tpt_119_halfLds_half_op_CI_CI_unitstride_sbrr_R2C_dirReg
                                        ; -- End function
	.section	.AMDGPU.csdata,"",@progbits
; Kernel info:
; codeLenInByte = 12896
; NumSgprs: 39
; NumVgprs: 107
; ScratchSize: 0
; MemoryBound: 0
; FloatMode: 240
; IeeeMode: 1
; LDSByteSize: 0 bytes/workgroup (compile time only)
; SGPRBlocks: 4
; VGPRBlocks: 26
; NumSGPRsForWavesPerEU: 39
; NumVGPRsForWavesPerEU: 107
; Occupancy: 2
; WaveLimiterHint : 1
; COMPUTE_PGM_RSRC2:SCRATCH_EN: 0
; COMPUTE_PGM_RSRC2:USER_SGPR: 6
; COMPUTE_PGM_RSRC2:TRAP_HANDLER: 0
; COMPUTE_PGM_RSRC2:TGID_X_EN: 1
; COMPUTE_PGM_RSRC2:TGID_Y_EN: 0
; COMPUTE_PGM_RSRC2:TGID_Z_EN: 0
; COMPUTE_PGM_RSRC2:TIDIG_COMP_CNT: 0
	.type	__hip_cuid_2499bf217e1565b0,@object ; @__hip_cuid_2499bf217e1565b0
	.section	.bss,"aw",@nobits
	.globl	__hip_cuid_2499bf217e1565b0
__hip_cuid_2499bf217e1565b0:
	.byte	0                               ; 0x0
	.size	__hip_cuid_2499bf217e1565b0, 1

	.ident	"AMD clang version 19.0.0git (https://github.com/RadeonOpenCompute/llvm-project roc-6.4.0 25133 c7fe45cf4b819c5991fe208aaa96edf142730f1d)"
	.section	".note.GNU-stack","",@progbits
	.addrsig
	.addrsig_sym __hip_cuid_2499bf217e1565b0
	.amdgpu_metadata
---
amdhsa.kernels:
  - .args:
      - .actual_access:  read_only
        .address_space:  global
        .offset:         0
        .size:           8
        .value_kind:     global_buffer
      - .offset:         8
        .size:           8
        .value_kind:     by_value
      - .actual_access:  read_only
        .address_space:  global
        .offset:         16
        .size:           8
        .value_kind:     global_buffer
      - .actual_access:  read_only
        .address_space:  global
        .offset:         24
        .size:           8
        .value_kind:     global_buffer
      - .actual_access:  read_only
        .address_space:  global
        .offset:         32
        .size:           8
        .value_kind:     global_buffer
      - .offset:         40
        .size:           8
        .value_kind:     by_value
      - .actual_access:  read_only
        .address_space:  global
        .offset:         48
        .size:           8
        .value_kind:     global_buffer
      - .actual_access:  read_only
        .address_space:  global
        .offset:         56
        .size:           8
        .value_kind:     global_buffer
      - .offset:         64
        .size:           4
        .value_kind:     by_value
      - .actual_access:  read_only
        .address_space:  global
        .offset:         72
        .size:           8
        .value_kind:     global_buffer
      - .actual_access:  read_only
        .address_space:  global
        .offset:         80
        .size:           8
        .value_kind:     global_buffer
      - .actual_access:  read_only
        .address_space:  global
        .offset:         88
        .size:           8
        .value_kind:     global_buffer
      - .actual_access:  write_only
        .address_space:  global
        .offset:         96
        .size:           8
        .value_kind:     global_buffer
    .group_segment_fixed_size: 0
    .kernarg_segment_align: 8
    .kernarg_segment_size: 104
    .language:       OpenCL C
    .language_version:
      - 2
      - 0
    .max_flat_workgroup_size: 119
    .name:           fft_rtc_fwd_len1666_factors_17_2_7_7_wgs_119_tpt_119_halfLds_half_op_CI_CI_unitstride_sbrr_R2C_dirReg
    .private_segment_fixed_size: 0
    .sgpr_count:     39
    .sgpr_spill_count: 0
    .symbol:         fft_rtc_fwd_len1666_factors_17_2_7_7_wgs_119_tpt_119_halfLds_half_op_CI_CI_unitstride_sbrr_R2C_dirReg.kd
    .uniform_work_group_size: 1
    .uses_dynamic_stack: false
    .vgpr_count:     107
    .vgpr_spill_count: 0
    .wavefront_size: 64
amdhsa.target:   amdgcn-amd-amdhsa--gfx906
amdhsa.version:
  - 1
  - 2
...

	.end_amdgpu_metadata
